;; amdgpu-corpus repo=ROCm/rocFFT kind=compiled arch=gfx906 opt=O3
	.text
	.amdgcn_target "amdgcn-amd-amdhsa--gfx906"
	.amdhsa_code_object_version 6
	.protected	fft_rtc_back_len1092_factors_2_2_13_7_3_wgs_52_tpt_52_halfLds_sp_op_CI_CI_sbrr_dirReg ; -- Begin function fft_rtc_back_len1092_factors_2_2_13_7_3_wgs_52_tpt_52_halfLds_sp_op_CI_CI_sbrr_dirReg
	.globl	fft_rtc_back_len1092_factors_2_2_13_7_3_wgs_52_tpt_52_halfLds_sp_op_CI_CI_sbrr_dirReg
	.p2align	8
	.type	fft_rtc_back_len1092_factors_2_2_13_7_3_wgs_52_tpt_52_halfLds_sp_op_CI_CI_sbrr_dirReg,@function
fft_rtc_back_len1092_factors_2_2_13_7_3_wgs_52_tpt_52_halfLds_sp_op_CI_CI_sbrr_dirReg: ; @fft_rtc_back_len1092_factors_2_2_13_7_3_wgs_52_tpt_52_halfLds_sp_op_CI_CI_sbrr_dirReg
; %bb.0:
	s_load_dwordx4 s[16:19], s[4:5], 0x18
	s_load_dwordx4 s[12:15], s[4:5], 0x0
	;; [unrolled: 1-line block ×3, first 2 shown]
	v_mul_u32_u24_e32 v1, 0x4ed, v0
	v_mov_b32_e32 v5, 0
	s_waitcnt lgkmcnt(0)
	s_load_dwordx2 s[2:3], s[16:17], 0x0
	s_load_dwordx2 s[20:21], s[18:19], 0x0
	v_cmp_lt_u64_e64 s[0:1], s[14:15], 2
	v_mov_b32_e32 v13, 0
	v_add_u32_sdwa v7, s6, v1 dst_sel:DWORD dst_unused:UNUSED_PAD src0_sel:DWORD src1_sel:WORD_1
	v_mov_b32_e32 v8, v5
	s_and_b64 vcc, exec, s[0:1]
	v_mov_b32_e32 v14, 0
	s_cbranch_vccnz .LBB0_8
; %bb.1:
	s_load_dwordx2 s[0:1], s[4:5], 0x10
	s_add_u32 s6, s18, 8
	s_addc_u32 s7, s19, 0
	s_add_u32 s22, s16, 8
	s_addc_u32 s23, s17, 0
	v_mov_b32_e32 v13, 0
	s_waitcnt lgkmcnt(0)
	s_add_u32 s24, s0, 8
	v_mov_b32_e32 v14, 0
	v_mov_b32_e32 v1, v13
	s_addc_u32 s25, s1, 0
	s_mov_b64 s[26:27], 1
	v_mov_b32_e32 v2, v14
.LBB0_2:                                ; =>This Inner Loop Header: Depth=1
	s_load_dwordx2 s[28:29], s[24:25], 0x0
                                        ; implicit-def: $vgpr3_vgpr4
	s_waitcnt lgkmcnt(0)
	v_or_b32_e32 v6, s29, v8
	v_cmp_ne_u64_e32 vcc, 0, v[5:6]
	s_and_saveexec_b64 s[0:1], vcc
	s_xor_b64 s[30:31], exec, s[0:1]
	s_cbranch_execz .LBB0_4
; %bb.3:                                ;   in Loop: Header=BB0_2 Depth=1
	v_cvt_f32_u32_e32 v3, s28
	v_cvt_f32_u32_e32 v4, s29
	s_sub_u32 s0, 0, s28
	s_subb_u32 s1, 0, s29
	v_mac_f32_e32 v3, 0x4f800000, v4
	v_rcp_f32_e32 v3, v3
	v_mul_f32_e32 v3, 0x5f7ffffc, v3
	v_mul_f32_e32 v4, 0x2f800000, v3
	v_trunc_f32_e32 v4, v4
	v_mac_f32_e32 v3, 0xcf800000, v4
	v_cvt_u32_f32_e32 v4, v4
	v_cvt_u32_f32_e32 v3, v3
	v_mul_lo_u32 v6, s0, v4
	v_mul_hi_u32 v9, s0, v3
	v_mul_lo_u32 v11, s1, v3
	v_mul_lo_u32 v10, s0, v3
	v_add_u32_e32 v6, v9, v6
	v_add_u32_e32 v6, v6, v11
	v_mul_hi_u32 v9, v3, v10
	v_mul_lo_u32 v11, v3, v6
	v_mul_hi_u32 v15, v3, v6
	v_mul_hi_u32 v12, v4, v10
	v_mul_lo_u32 v10, v4, v10
	v_mul_hi_u32 v16, v4, v6
	v_add_co_u32_e32 v9, vcc, v9, v11
	v_addc_co_u32_e32 v11, vcc, 0, v15, vcc
	v_mul_lo_u32 v6, v4, v6
	v_add_co_u32_e32 v9, vcc, v9, v10
	v_addc_co_u32_e32 v9, vcc, v11, v12, vcc
	v_addc_co_u32_e32 v10, vcc, 0, v16, vcc
	v_add_co_u32_e32 v6, vcc, v9, v6
	v_addc_co_u32_e32 v9, vcc, 0, v10, vcc
	v_add_co_u32_e32 v3, vcc, v3, v6
	v_addc_co_u32_e32 v4, vcc, v4, v9, vcc
	v_mul_lo_u32 v6, s0, v4
	v_mul_hi_u32 v9, s0, v3
	v_mul_lo_u32 v10, s1, v3
	v_mul_lo_u32 v11, s0, v3
	v_add_u32_e32 v6, v9, v6
	v_add_u32_e32 v6, v6, v10
	v_mul_lo_u32 v12, v3, v6
	v_mul_hi_u32 v15, v3, v11
	v_mul_hi_u32 v16, v3, v6
	;; [unrolled: 1-line block ×3, first 2 shown]
	v_mul_lo_u32 v11, v4, v11
	v_mul_hi_u32 v9, v4, v6
	v_add_co_u32_e32 v12, vcc, v15, v12
	v_addc_co_u32_e32 v15, vcc, 0, v16, vcc
	v_mul_lo_u32 v6, v4, v6
	v_add_co_u32_e32 v11, vcc, v12, v11
	v_addc_co_u32_e32 v10, vcc, v15, v10, vcc
	v_addc_co_u32_e32 v9, vcc, 0, v9, vcc
	v_add_co_u32_e32 v6, vcc, v10, v6
	v_addc_co_u32_e32 v9, vcc, 0, v9, vcc
	v_add_co_u32_e32 v6, vcc, v3, v6
	v_addc_co_u32_e32 v9, vcc, v4, v9, vcc
	v_mad_u64_u32 v[3:4], s[0:1], v7, v9, 0
	v_mul_hi_u32 v10, v7, v6
	v_add_co_u32_e32 v11, vcc, v10, v3
	v_addc_co_u32_e32 v12, vcc, 0, v4, vcc
	v_mad_u64_u32 v[3:4], s[0:1], v8, v6, 0
	v_mad_u64_u32 v[9:10], s[0:1], v8, v9, 0
	v_add_co_u32_e32 v3, vcc, v11, v3
	v_addc_co_u32_e32 v3, vcc, v12, v4, vcc
	v_addc_co_u32_e32 v4, vcc, 0, v10, vcc
	v_add_co_u32_e32 v6, vcc, v3, v9
	v_addc_co_u32_e32 v9, vcc, 0, v4, vcc
	v_mul_lo_u32 v10, s29, v6
	v_mul_lo_u32 v11, s28, v9
	v_mad_u64_u32 v[3:4], s[0:1], s28, v6, 0
	v_add3_u32 v4, v4, v11, v10
	v_sub_u32_e32 v10, v8, v4
	v_mov_b32_e32 v11, s29
	v_sub_co_u32_e32 v3, vcc, v7, v3
	v_subb_co_u32_e64 v10, s[0:1], v10, v11, vcc
	v_subrev_co_u32_e64 v11, s[0:1], s28, v3
	v_subbrev_co_u32_e64 v10, s[0:1], 0, v10, s[0:1]
	v_cmp_le_u32_e64 s[0:1], s29, v10
	v_cndmask_b32_e64 v12, 0, -1, s[0:1]
	v_cmp_le_u32_e64 s[0:1], s28, v11
	v_cndmask_b32_e64 v11, 0, -1, s[0:1]
	v_cmp_eq_u32_e64 s[0:1], s29, v10
	v_cndmask_b32_e64 v10, v12, v11, s[0:1]
	v_add_co_u32_e64 v11, s[0:1], 2, v6
	v_addc_co_u32_e64 v12, s[0:1], 0, v9, s[0:1]
	v_add_co_u32_e64 v15, s[0:1], 1, v6
	v_addc_co_u32_e64 v16, s[0:1], 0, v9, s[0:1]
	v_subb_co_u32_e32 v4, vcc, v8, v4, vcc
	v_cmp_ne_u32_e64 s[0:1], 0, v10
	v_cmp_le_u32_e32 vcc, s29, v4
	v_cndmask_b32_e64 v10, v16, v12, s[0:1]
	v_cndmask_b32_e64 v12, 0, -1, vcc
	v_cmp_le_u32_e32 vcc, s28, v3
	v_cndmask_b32_e64 v3, 0, -1, vcc
	v_cmp_eq_u32_e32 vcc, s29, v4
	v_cndmask_b32_e32 v3, v12, v3, vcc
	v_cmp_ne_u32_e32 vcc, 0, v3
	v_cndmask_b32_e64 v3, v15, v11, s[0:1]
	v_cndmask_b32_e32 v4, v9, v10, vcc
	v_cndmask_b32_e32 v3, v6, v3, vcc
.LBB0_4:                                ;   in Loop: Header=BB0_2 Depth=1
	s_andn2_saveexec_b64 s[0:1], s[30:31]
	s_cbranch_execz .LBB0_6
; %bb.5:                                ;   in Loop: Header=BB0_2 Depth=1
	v_cvt_f32_u32_e32 v3, s28
	s_sub_i32 s30, 0, s28
	v_rcp_iflag_f32_e32 v3, v3
	v_mul_f32_e32 v3, 0x4f7ffffe, v3
	v_cvt_u32_f32_e32 v3, v3
	v_mul_lo_u32 v4, s30, v3
	v_mul_hi_u32 v4, v3, v4
	v_add_u32_e32 v3, v3, v4
	v_mul_hi_u32 v3, v7, v3
	v_mul_lo_u32 v4, v3, s28
	v_add_u32_e32 v6, 1, v3
	v_sub_u32_e32 v4, v7, v4
	v_subrev_u32_e32 v9, s28, v4
	v_cmp_le_u32_e32 vcc, s28, v4
	v_cndmask_b32_e32 v4, v4, v9, vcc
	v_cndmask_b32_e32 v3, v3, v6, vcc
	v_add_u32_e32 v6, 1, v3
	v_cmp_le_u32_e32 vcc, s28, v4
	v_cndmask_b32_e32 v3, v3, v6, vcc
	v_mov_b32_e32 v4, v5
.LBB0_6:                                ;   in Loop: Header=BB0_2 Depth=1
	s_or_b64 exec, exec, s[0:1]
	v_mul_lo_u32 v6, v4, s28
	v_mul_lo_u32 v11, v3, s29
	v_mad_u64_u32 v[9:10], s[0:1], v3, s28, 0
	s_load_dwordx2 s[0:1], s[22:23], 0x0
	s_load_dwordx2 s[28:29], s[6:7], 0x0
	v_add3_u32 v6, v10, v11, v6
	v_sub_co_u32_e32 v7, vcc, v7, v9
	v_subb_co_u32_e32 v6, vcc, v8, v6, vcc
	s_waitcnt lgkmcnt(0)
	v_mul_lo_u32 v8, s0, v6
	v_mul_lo_u32 v9, s1, v7
	v_mad_u64_u32 v[13:14], s[0:1], s0, v7, v[13:14]
	v_mul_lo_u32 v6, s28, v6
	v_mul_lo_u32 v10, s29, v7
	v_mad_u64_u32 v[1:2], s[0:1], s28, v7, v[1:2]
	s_add_u32 s26, s26, 1
	s_addc_u32 s27, s27, 0
	s_add_u32 s6, s6, 8
	v_add3_u32 v2, v10, v2, v6
	s_addc_u32 s7, s7, 0
	v_mov_b32_e32 v6, s14
	s_add_u32 s22, s22, 8
	v_mov_b32_e32 v7, s15
	s_addc_u32 s23, s23, 0
	v_cmp_ge_u64_e32 vcc, s[26:27], v[6:7]
	s_add_u32 s24, s24, 8
	v_add3_u32 v14, v9, v14, v8
	s_addc_u32 s25, s25, 0
	s_cbranch_vccnz .LBB0_9
; %bb.7:                                ;   in Loop: Header=BB0_2 Depth=1
	v_mov_b32_e32 v8, v4
	v_mov_b32_e32 v7, v3
	s_branch .LBB0_2
.LBB0_8:
	v_mov_b32_e32 v1, v13
	v_mov_b32_e32 v3, v7
	;; [unrolled: 1-line block ×4, first 2 shown]
.LBB0_9:
	s_load_dwordx2 s[0:1], s[4:5], 0x28
	s_lshl_b64 s[14:15], s[14:15], 3
	s_add_u32 s4, s18, s14
	s_addc_u32 s5, s19, s15
                                        ; implicit-def: $sgpr18
                                        ; implicit-def: $vgpr64
                                        ; implicit-def: $vgpr72
                                        ; implicit-def: $vgpr65
                                        ; implicit-def: $vgpr17
                                        ; implicit-def: $vgpr61
                                        ; implicit-def: $vgpr63
                                        ; implicit-def: $vgpr62
                                        ; implicit-def: $vgpr73
                                        ; implicit-def: $vgpr74
                                        ; implicit-def: $vgpr75
	s_waitcnt lgkmcnt(0)
	v_cmp_gt_u64_e32 vcc, s[0:1], v[3:4]
	v_cmp_le_u64_e64 s[0:1], s[0:1], v[3:4]
	s_and_saveexec_b64 s[6:7], s[0:1]
	s_xor_b64 s[0:1], exec, s[6:7]
	s_cbranch_execz .LBB0_11
; %bb.10:
	s_mov_b32 s6, 0x4ec4ec5
	v_mul_hi_u32 v5, v0, s6
	s_mov_b32 s18, 0
                                        ; implicit-def: $vgpr13_vgpr14
	v_mul_u32_u24_e32 v5, 52, v5
	v_sub_u32_e32 v64, v0, v5
	v_add_u32_e32 v72, 52, v64
	v_add_u32_e32 v65, 0x68, v64
	;; [unrolled: 1-line block ×9, first 2 shown]
                                        ; implicit-def: $vgpr0
.LBB0_11:
	s_or_saveexec_b64 s[6:7], s[0:1]
	s_load_dwordx2 s[4:5], s[4:5], 0x0
	v_mov_b32_e32 v36, s18
	v_mov_b32_e32 v35, s18
                                        ; implicit-def: $vgpr6
                                        ; implicit-def: $vgpr8
                                        ; implicit-def: $vgpr10
                                        ; implicit-def: $vgpr12
                                        ; implicit-def: $vgpr16
                                        ; implicit-def: $vgpr28
                                        ; implicit-def: $vgpr30
                                        ; implicit-def: $vgpr32
                                        ; implicit-def: $vgpr34
                                        ; implicit-def: $vgpr40
                                        ; implicit-def: $vgpr38
                                        ; implicit-def: $vgpr44
                                        ; implicit-def: $vgpr42
                                        ; implicit-def: $vgpr48
                                        ; implicit-def: $vgpr46
                                        ; implicit-def: $vgpr52
                                        ; implicit-def: $vgpr50
                                        ; implicit-def: $vgpr56
                                        ; implicit-def: $vgpr54
                                        ; implicit-def: $vgpr58
                                        ; implicit-def: $vgpr60
	s_xor_b64 exec, exec, s[6:7]
	s_cbranch_execz .LBB0_15
; %bb.12:
	s_add_u32 s0, s16, s14
	s_mov_b32 s14, 0x4ec4ec5
	s_addc_u32 s1, s17, s15
	v_mul_hi_u32 v5, v0, s14
	s_load_dwordx2 s[0:1], s[0:1], 0x0
	v_mul_u32_u24_e32 v5, 52, v5
	v_sub_u32_e32 v64, v0, v5
	s_waitcnt lgkmcnt(0)
	v_mul_lo_u32 v11, s1, v3
	v_mad_u64_u32 v[5:6], s[14:15], s2, v64, 0
	v_mul_lo_u32 v12, s0, v4
	v_mad_u64_u32 v[7:8], s[0:1], s0, v3, 0
	v_mov_b32_e32 v0, v6
	v_mad_u64_u32 v[9:10], s[0:1], s3, v64, v[0:1]
	v_add3_u32 v8, v8, v12, v11
	v_lshlrev_b64 v[7:8], 3, v[7:8]
	v_mov_b32_e32 v0, s9
	v_add_co_u32_e64 v11, s[0:1], s8, v7
	v_addc_co_u32_e64 v12, s[0:1], v0, v8, s[0:1]
	v_lshlrev_b64 v[7:8], 3, v[13:14]
	v_add_u32_e32 v14, 0x222, v64
	v_mov_b32_e32 v6, v9
	v_mad_u64_u32 v[9:10], s[0:1], s2, v14, 0
	v_add_co_u32_e64 v0, s[0:1], v11, v7
	v_mov_b32_e32 v7, v10
	v_add_u32_e32 v72, 52, v64
	v_addc_co_u32_e64 v13, s[0:1], v12, v8, s[0:1]
	v_mad_u64_u32 v[7:8], s[0:1], s3, v14, v[7:8]
	v_mad_u64_u32 v[11:12], s[0:1], s2, v72, 0
	v_lshlrev_b64 v[5:6], 3, v[5:6]
	v_mov_b32_e32 v10, v7
	v_add_co_u32_e64 v18, s[0:1], v0, v5
	v_mov_b32_e32 v7, v12
	v_addc_co_u32_e64 v19, s[0:1], v13, v6, s[0:1]
	v_lshlrev_b64 v[5:6], 3, v[9:10]
	v_mad_u64_u32 v[7:8], s[0:1], s3, v72, v[7:8]
	v_add_u32_e32 v10, 0x256, v64
	v_mad_u64_u32 v[8:9], s[0:1], s2, v10, 0
	v_add_co_u32_e64 v20, s[0:1], v0, v5
	v_mov_b32_e32 v12, v7
	v_mov_b32_e32 v7, v9
	v_addc_co_u32_e64 v21, s[0:1], v13, v6, s[0:1]
	v_mad_u64_u32 v[9:10], s[0:1], s3, v10, v[7:8]
	v_add_u32_e32 v65, 0x68, v64
	v_lshlrev_b64 v[5:6], 3, v[11:12]
	v_mad_u64_u32 v[10:11], s[0:1], s2, v65, 0
	v_add_co_u32_e64 v22, s[0:1], v0, v5
	v_mov_b32_e32 v7, v11
	v_addc_co_u32_e64 v23, s[0:1], v13, v6, s[0:1]
	v_lshlrev_b64 v[5:6], 3, v[8:9]
	v_mad_u64_u32 v[7:8], s[0:1], s3, v65, v[7:8]
	v_add_u32_e32 v12, 0x28a, v64
	v_mad_u64_u32 v[8:9], s[0:1], s2, v12, 0
	v_add_co_u32_e64 v24, s[0:1], v0, v5
	v_mov_b32_e32 v11, v7
	v_mov_b32_e32 v7, v9
	v_addc_co_u32_e64 v25, s[0:1], v13, v6, s[0:1]
	v_lshlrev_b64 v[5:6], 3, v[10:11]
	v_mad_u64_u32 v[9:10], s[0:1], s3, v12, v[7:8]
	v_add_u32_e32 v17, 0x9c, v64
	v_mad_u64_u32 v[10:11], s[0:1], s2, v17, 0
	v_add_co_u32_e64 v35, s[0:1], v0, v5
	v_mov_b32_e32 v7, v11
	v_addc_co_u32_e64 v36, s[0:1], v13, v6, s[0:1]
	v_lshlrev_b64 v[5:6], 3, v[8:9]
	v_mad_u64_u32 v[7:8], s[0:1], s3, v17, v[7:8]
	v_add_u32_e32 v12, 0x2be, v64
	v_mad_u64_u32 v[8:9], s[0:1], s2, v12, 0
	v_add_co_u32_e64 v49, s[0:1], v0, v5
	v_mov_b32_e32 v11, v7
	v_mov_b32_e32 v7, v9
	v_addc_co_u32_e64 v50, s[0:1], v13, v6, s[0:1]
	v_lshlrev_b64 v[5:6], 3, v[10:11]
	v_mad_u64_u32 v[9:10], s[0:1], s3, v12, v[7:8]
	v_add_u32_e32 v61, 0xd0, v64
	;; [unrolled: 15-line block ×7, first 2 shown]
	v_mad_u64_u32 v[10:11], s[0:1], s2, v75, 0
	v_add_co_u32_e64 v80, s[0:1], v0, v5
	v_mov_b32_e32 v7, v11
	v_addc_co_u32_e64 v81, s[0:1], v13, v6, s[0:1]
	v_lshlrev_b64 v[5:6], 3, v[8:9]
	v_mad_u64_u32 v[7:8], s[0:1], s3, v75, v[7:8]
	v_add_u32_e32 v12, 0x3f6, v64
	v_mad_u64_u32 v[8:9], s[0:1], s2, v12, 0
	v_add_co_u32_e64 v82, s[0:1], v0, v5
	v_mov_b32_e32 v11, v7
	v_mov_b32_e32 v7, v9
	v_addc_co_u32_e64 v83, s[0:1], v13, v6, s[0:1]
	v_lshlrev_b64 v[5:6], 3, v[10:11]
	v_mad_u64_u32 v[9:10], s[0:1], s3, v12, v[7:8]
	v_add_co_u32_e64 v84, s[0:1], v0, v5
	v_addc_co_u32_e64 v85, s[0:1], v13, v6, s[0:1]
	v_lshlrev_b64 v[5:6], 3, v[8:9]
	v_add_co_u32_e64 v86, s[0:1], v0, v5
	v_addc_co_u32_e64 v87, s[0:1], v13, v6, s[0:1]
	global_load_dwordx2 v[5:6], v[18:19], off
	global_load_dwordx2 v[7:8], v[20:21], off
	;; [unrolled: 1-line block ×15, first 2 shown]
                                        ; kill: killed $vgpr57 killed $vgpr58
                                        ; kill: killed $vgpr22 killed $vgpr23
                                        ; kill: killed $vgpr59 killed $vgpr60
                                        ; kill: killed $vgpr53 killed $vgpr54
                                        ; kill: killed $vgpr20 killed $vgpr21
                                        ; kill: killed $vgpr55 killed $vgpr56
                                        ; kill: killed $vgpr49 killed $vgpr50
                                        ; kill: killed $vgpr70 killed $vgpr71
                                        ; kill: killed $vgpr51 killed $vgpr52
                                        ; kill: killed $vgpr76 killed $vgpr77
                                        ; kill: killed $vgpr24 killed $vgpr25
                                        ; kill: killed $vgpr66 killed $vgpr67
                                        ; kill: killed $vgpr18 killed $vgpr19
                                        ; kill: killed $vgpr35 killed $vgpr36
                                        ; kill: killed $vgpr68 killed $vgpr69
	global_load_dwordx2 v[51:52], v[78:79], off
	global_load_dwordx2 v[49:50], v[80:81], off
	;; [unrolled: 1-line block ×5, first 2 shown]
	v_cmp_gt_u32_e64 s[0:1], 26, v64
	v_mov_b32_e32 v35, 0
	v_mov_b32_e32 v36, 0
                                        ; implicit-def: $vgpr59
	s_and_saveexec_b64 s[8:9], s[0:1]
	s_cbranch_execz .LBB0_14
; %bb.13:
	v_add_u32_e32 v22, 0x208, v64
	v_mad_u64_u32 v[18:19], s[0:1], s2, v22, 0
	v_add_u32_e32 v24, 0x42a, v64
	v_mad_u64_u32 v[20:21], s[0:1], s2, v24, 0
	v_mov_b32_e32 v14, v19
	s_waitcnt vmcnt(15)
	v_mad_u64_u32 v[22:23], s[0:1], s3, v22, v[14:15]
	v_mov_b32_e32 v14, v21
	v_mov_b32_e32 v19, v22
	v_mad_u64_u32 v[21:22], s[0:1], s3, v24, v[14:15]
	v_lshlrev_b64 v[18:19], 3, v[18:19]
	v_add_co_u32_e64 v18, s[0:1], v0, v18
	v_lshlrev_b64 v[20:21], 3, v[20:21]
	v_addc_co_u32_e64 v19, s[0:1], v13, v19, s[0:1]
	v_add_co_u32_e64 v20, s[0:1], v0, v20
	v_addc_co_u32_e64 v21, s[0:1], v13, v21, s[0:1]
	global_load_dwordx2 v[35:36], v[18:19], off
	global_load_dwordx2 v[59:60], v[20:21], off
.LBB0_14:
	s_or_b64 exec, exec, s[8:9]
.LBB0_15:
	s_or_b64 exec, exec, s[6:7]
	s_waitcnt vmcnt(18)
	v_sub_f32_e32 v14, v5, v7
	v_fma_f32 v13, v5, 2.0, -v14
	v_lshl_add_u32 v5, v64, 3, 0
	s_waitcnt vmcnt(16)
	v_sub_f32_e32 v19, v9, v11
	ds_write_b64 v5, v[13:14]
	s_waitcnt vmcnt(14)
	v_sub_f32_e32 v14, v15, v27
	v_fma_f32 v18, v9, 2.0, -v19
	v_fma_f32 v13, v15, 2.0, -v14
	v_lshl_add_u32 v9, v72, 3, 0
	v_lshl_add_u32 v7, v65, 3, 0
	ds_write_b64 v9, v[18:19]
	ds_write_b64 v7, v[13:14]
	s_waitcnt vmcnt(12)
	v_sub_f32_e32 v14, v29, v31
	v_fma_f32 v13, v29, 2.0, -v14
	v_lshl_add_u32 v29, v17, 3, 0
	ds_write_b64 v29, v[13:14]
	s_waitcnt vmcnt(10)
	v_sub_f32_e32 v14, v33, v39
	v_fma_f32 v13, v33, 2.0, -v14
	v_lshl_add_u32 v33, v61, 3, 0
	;; [unrolled: 5-line block ×7, first 2 shown]
	v_sub_f32_e32 v15, v35, v59
	ds_write_b64 v57, v[13:14]
	v_fma_f32 v14, v35, 2.0, -v15
	v_add_u32_e32 v35, 0x208, v64
	v_cmp_gt_u32_e64 s[2:3], 26, v64
	v_lshl_add_u32 v11, v35, 3, 0
	s_and_saveexec_b64 s[0:1], s[2:3]
	s_cbranch_execz .LBB0_17
; %bb.16:
	ds_write_b64 v11, v[14:15]
.LBB0_17:
	s_or_b64 exec, exec, s[0:1]
	v_lshl_add_u32 v0, v64, 2, 0
	v_add_u32_e32 v20, 0x800, v0
	v_lshlrev_b32_e32 v13, 2, v65
	v_lshlrev_b32_e32 v31, 2, v17
	;; [unrolled: 1-line block ×3, first 2 shown]
	v_add_u32_e32 v22, 0xa00, v0
	v_lshlrev_b32_e32 v49, 2, v63
	v_lshlrev_b32_e32 v69, 2, v62
	v_add_u32_e32 v70, 0xc00, v0
	v_lshlrev_b32_e32 v71, 2, v73
	s_waitcnt lgkmcnt(0)
	; wave barrier
	s_waitcnt lgkmcnt(0)
	ds_read2_b32 v[18:19], v20 offset0:34 offset1:86
	v_lshl_add_u32 v67, v72, 2, 0
	v_sub_u32_e32 v26, v7, v13
	ds_read2_b32 v[20:21], v20 offset0:138 offset1:190
	v_sub_u32_e32 v27, v29, v31
	v_sub_u32_e32 v45, v33, v43
	ds_read2_b32 v[22:23], v22 offset0:114 offset1:166
	v_sub_u32_e32 v47, v37, v49
	;; [unrolled: 3-line block ×3, first 2 shown]
	ds_read_b32 v87, v0
	ds_read_b32 v39, v67
	;; [unrolled: 1-line block ×8, first 2 shown]
	v_lshlrev_b32_e32 v77, 2, v74
	v_sub_u32_e32 v45, v41, v77
	v_lshlrev_b32_e32 v78, 2, v75
	ds_read2_b32 v[26:27], v70 offset0:194 offset1:246
	v_sub_u32_e32 v47, v57, v78
	ds_read_b32 v90, v45
	ds_read_b32 v91, v47
	s_and_saveexec_b64 s[0:1], s[2:3]
	s_cbranch_execz .LBB0_19
; %bb.18:
	ds_read_b32 v14, v0 offset:2080
	ds_read_b32 v15, v0 offset:4264
.LBB0_19:
	s_or_b64 exec, exec, s[0:1]
	v_sub_u32_e32 v68, 0, v31
	v_sub_u32_e32 v79, 0, v78
	v_sub_f32_e32 v78, v6, v8
	v_sub_f32_e32 v93, v30, v32
	v_sub_f32_e32 v31, v36, v60
	v_sub_u32_e32 v45, 0, v13
	v_sub_u32_e32 v47, 0, v43
	;; [unrolled: 1-line block ×6, first 2 shown]
	v_fma_f32 v77, v6, 2.0, -v78
	v_sub_f32_e32 v13, v10, v12
	v_sub_f32_e32 v85, v16, v28
	v_fma_f32 v92, v30, 2.0, -v93
	v_sub_f32_e32 v95, v34, v40
	v_sub_f32_e32 v44, v38, v44
	;; [unrolled: 1-line block ×6, first 2 shown]
	v_fma_f32 v30, v36, 2.0, -v31
	v_fma_f32 v12, v10, 2.0, -v13
	;; [unrolled: 1-line block ×9, first 2 shown]
	s_waitcnt lgkmcnt(0)
	; wave barrier
	s_waitcnt lgkmcnt(0)
	ds_write_b64 v5, v[77:78]
	ds_write_b64 v9, v[12:13]
	;; [unrolled: 1-line block ×10, first 2 shown]
	s_and_saveexec_b64 s[0:1], s[2:3]
	s_cbranch_execz .LBB0_21
; %bb.20:
	ds_write_b64 v11, v[30:31]
.LBB0_21:
	s_or_b64 exec, exec, s[0:1]
	v_add_u32_e32 v10, v7, v45
	v_add_u32_e32 v7, 0xa00, v0
	s_waitcnt lgkmcnt(0)
	; wave barrier
	s_waitcnt lgkmcnt(0)
	v_add_u32_e32 v8, 0x800, v0
	v_add_u32_e32 v69, v33, v47
	ds_read2_b32 v[46:47], v7 offset0:114 offset1:166
	v_add_u32_e32 v7, 0xc00, v0
	ds_read2_b32 v[42:43], v8 offset0:34 offset1:86
	ds_read2_b32 v[44:45], v8 offset0:138 offset1:190
	v_add_u32_e32 v68, v29, v68
	v_add_u32_e32 v70, v37, v70
	;; [unrolled: 1-line block ×3, first 2 shown]
	ds_read2_b32 v[48:49], v7 offset0:90 offset1:142
	v_add_u32_e32 v66, v51, v76
	ds_read_b32 v88, v0
	ds_read_b32 v86, v67
	;; [unrolled: 1-line block ×8, first 2 shown]
	v_add_u32_e32 v16, v41, v81
	ds_read2_b32 v[50:51], v7 offset0:194 offset1:246
	v_add_u32_e32 v8, v57, v79
	ds_read_b32 v81, v16
	ds_read_b32 v79, v8
	v_lshlrev_b32_e32 v5, 1, v64
	v_lshlrev_b32_e32 v6, 1, v72
	;; [unrolled: 1-line block ×10, first 2 shown]
	s_and_saveexec_b64 s[0:1], s[2:3]
	s_cbranch_execz .LBB0_23
; %bb.22:
	ds_read_b32 v30, v0 offset:2080
	ds_read_b32 v31, v0 offset:4264
.LBB0_23:
	s_or_b64 exec, exec, s[0:1]
	v_and_b32_e32 v74, 1, v64
	v_lshlrev_b32_e32 v29, 3, v74
	global_load_dwordx2 v[56:57], v29, s[12:13]
	s_movk_i32 s0, 0x7c
	s_movk_i32 s6, 0x1fc
	;; [unrolled: 1-line block ×6, first 2 shown]
	v_and_or_b32 v29, v5, s0, v74
	v_and_or_b32 v33, v9, s6, v74
	;; [unrolled: 1-line block ×10, first 2 shown]
	v_lshl_add_u32 v92, v29, 2, 0
	v_lshl_add_u32 v94, v33, 2, 0
	;; [unrolled: 1-line block ×10, first 2 shown]
	s_waitcnt lgkmcnt(0)
	; wave barrier
	s_waitcnt vmcnt(0) lgkmcnt(0)
	v_mul_f32_e32 v16, v42, v57
	v_mul_f32_e32 v29, v45, v57
	;; [unrolled: 1-line block ×11, first 2 shown]
	v_fmac_f32_e32 v16, v18, v56
	v_fmac_f32_e32 v29, v21, v56
	;; [unrolled: 1-line block ×11, first 2 shown]
	v_sub_f32_e32 v16, v87, v16
	v_sub_f32_e32 v54, v55, v29
	;; [unrolled: 1-line block ×11, first 2 shown]
	v_fma_f32 v34, v87, 2.0, -v16
	v_fma_f32 v40, v89, 2.0, -v41
	;; [unrolled: 1-line block ×5, first 2 shown]
	v_lshlrev_b32_e32 v14, 1, v35
	v_fma_f32 v38, v39, 2.0, -v17
	v_fma_f32 v39, v53, 2.0, -v52
	;; [unrolled: 1-line block ×6, first 2 shown]
	ds_write2_b32 v92, v34, v16 offset1:2
	ds_write2_b32 v93, v38, v17 offset1:2
	;; [unrolled: 1-line block ×10, first 2 shown]
	s_and_saveexec_b64 s[0:1], s[2:3]
	s_cbranch_execz .LBB0_25
; %bb.24:
	s_movk_i32 s6, 0x47c
	v_and_or_b32 v16, v14, s6, v74
	v_lshl_add_u32 v16, v16, 2, 0
	ds_write2_b32 v16, v28, v29 offset1:2
.LBB0_25:
	s_or_b64 exec, exec, s[0:1]
	v_add_u32_e32 v83, 0x400, v0
	v_add_u32_e32 v82, 0x600, v0
	;; [unrolled: 1-line block ×4, first 2 shown]
	s_waitcnt lgkmcnt(0)
	; wave barrier
	s_waitcnt lgkmcnt(0)
	ds_read2_b32 v[16:17], v0 offset1:84
	ds_read2_b32 v[62:63], v0 offset0:168 offset1:252
	ds_read2_b32 v[60:61], v83 offset0:80 offset1:164
	;; [unrolled: 1-line block ×5, first 2 shown]
	ds_read_b32 v75, v0 offset:4032
	v_cmp_gt_u32_e64 s[0:1], 32, v64
                                        ; implicit-def: $vgpr35
                                        ; implicit-def: $vgpr39
	s_and_saveexec_b64 s[6:7], s[0:1]
	s_cbranch_execz .LBB0_27
; %bb.26:
	ds_read_b32 v73, v67
	ds_read2_b32 v[40:41], v0 offset0:136 offset1:220
	ds_read2_b32 v[36:37], v83 offset0:48 offset1:132
	;; [unrolled: 1-line block ×5, first 2 shown]
	v_add_u32_e32 v34, 0xe00, v0
	ds_read2_b32 v[34:35], v34 offset0:80 offset1:164
.LBB0_27:
	s_or_b64 exec, exec, s[6:7]
	v_mul_f32_e32 v18, v18, v57
	v_mul_f32_e32 v19, v19, v57
	;; [unrolled: 1-line block ×8, first 2 shown]
	v_fma_f32 v18, v42, v56, -v18
	v_fma_f32 v19, v43, v56, -v19
	;; [unrolled: 1-line block ×3, first 2 shown]
	v_mul_f32_e32 v21, v21, v57
	v_mul_f32_e32 v22, v22, v57
	v_fma_f32 v23, v47, v56, -v23
	v_mul_f32_e32 v24, v24, v57
	v_fma_f32 v25, v49, v56, -v25
	v_fma_f32 v26, v50, v56, -v26
	;; [unrolled: 1-line block ×7, first 2 shown]
	v_sub_f32_e32 v31, v88, v18
	v_sub_f32_e32 v46, v86, v19
	;; [unrolled: 1-line block ×7, first 2 shown]
	v_fma_f32 v45, v88, 2.0, -v31
	v_sub_f32_e32 v20, v85, v20
	v_sub_f32_e32 v21, v84, v21
	;; [unrolled: 1-line block ×4, first 2 shown]
	v_fma_f32 v42, v76, 2.0, -v43
	v_fma_f32 v26, v81, 2.0, -v27
	;; [unrolled: 1-line block ×10, first 2 shown]
	s_waitcnt lgkmcnt(0)
	; wave barrier
	s_waitcnt lgkmcnt(0)
	ds_write2_b32 v92, v45, v31 offset1:2
	ds_write2_b32 v93, v47, v46 offset1:2
	ds_write2_b32 v94, v48, v20 offset1:2
	ds_write2_b32 v95, v49, v21 offset1:2
	ds_write2_b32 v96, v51, v50 offset1:2
	ds_write2_b32 v97, v78, v56 offset1:2
	ds_write2_b32 v98, v24, v57 offset1:2
	ds_write2_b32 v99, v42, v43 offset1:2
	ds_write2_b32 v100, v26, v27 offset1:2
	ds_write2_b32 v101, v22, v23 offset1:2
	s_and_saveexec_b64 s[6:7], s[2:3]
	s_cbranch_execz .LBB0_29
; %bb.28:
	s_movk_i32 s2, 0x47c
	v_and_or_b32 v14, v14, s2, v74
	v_lshl_add_u32 v14, v14, 2, 0
	ds_write2_b32 v14, v18, v19 offset1:2
.LBB0_29:
	s_or_b64 exec, exec, s[6:7]
	v_add_u32_e32 v74, 0x400, v0
	v_add_u32_e32 v56, 0x600, v0
	;; [unrolled: 1-line block ×4, first 2 shown]
	s_waitcnt lgkmcnt(0)
	; wave barrier
	s_waitcnt lgkmcnt(0)
	ds_read2_b32 v[14:15], v0 offset1:84
	ds_read2_b32 v[50:51], v0 offset0:168 offset1:252
	ds_read2_b32 v[48:49], v74 offset0:80 offset1:164
	;; [unrolled: 1-line block ×5, first 2 shown]
	ds_read_b32 v88, v0 offset:4032
                                        ; implicit-def: $vgpr21
                                        ; implicit-def: $vgpr25
	s_and_saveexec_b64 s[2:3], s[0:1]
	s_cbranch_execz .LBB0_31
; %bb.30:
	ds_read_b32 v57, v67
	ds_read2_b32 v[42:43], v0 offset0:136 offset1:220
	ds_read2_b32 v[26:27], v74 offset0:48 offset1:132
	ds_read2_b32 v[22:23], v56 offset0:88 offset1:172
	ds_read2_b32 v[18:19], v24 offset0:128 offset1:212
	ds_read2_b32 v[24:25], v20 offset0:40 offset1:124
	v_add_u32_e32 v20, 0xe00, v0
	ds_read2_b32 v[20:21], v20 offset0:80 offset1:164
.LBB0_31:
	s_or_b64 exec, exec, s[2:3]
	v_and_b32_e32 v56, 3, v64
	v_mul_u32_u24_e32 v74, 12, v56
	v_lshlrev_b32_e32 v79, 3, v74
	global_load_dwordx4 v[89:92], v79, s[12:13] offset:64
	global_load_dwordx4 v[93:96], v79, s[12:13] offset:48
	;; [unrolled: 1-line block ×6, first 2 shown]
	s_mov_b32 s6, 0x3f62ad3f
	s_mov_b32 s7, 0x3f116cb1
	;; [unrolled: 1-line block ×6, first 2 shown]
	s_waitcnt lgkmcnt(0)
	; wave barrier
	s_waitcnt vmcnt(3) lgkmcnt(0)
	v_mul_f32_e32 v74, v51, v98
	s_waitcnt vmcnt(2)
	v_mul_f32_e32 v81, v15, v102
	v_fmac_f32_e32 v81, v17, v101
	v_mul_f32_e32 v17, v17, v102
	v_fma_f32 v82, v15, v101, -v17
	v_mul_f32_e32 v15, v62, v104
	v_mul_f32_e32 v77, v50, v104
	v_fma_f32 v78, v50, v103, -v15
	v_mul_f32_e32 v15, v63, v98
	v_fmac_f32_e32 v77, v62, v103
	v_fma_f32 v76, v51, v97, -v15
	v_mul_f32_e32 v62, v48, v100
	v_mul_f32_e32 v15, v60, v100
	v_fmac_f32_e32 v74, v63, v97
	v_fmac_f32_e32 v62, v60, v99
	v_fma_f32 v63, v48, v99, -v15
	v_mul_f32_e32 v60, v49, v94
	v_mul_f32_e32 v15, v61, v94
	;; [unrolled: 1-line block ×3, first 2 shown]
	v_fmac_f32_e32 v60, v61, v93
	v_fma_f32 v61, v49, v93, -v15
	v_mul_f32_e32 v15, v46, v96
	v_fma_f32 v17, v46, v95, -v17
	v_mul_f32_e32 v46, v59, v90
	v_fmac_f32_e32 v15, v58, v95
	v_fma_f32 v50, v47, v89, -v46
	v_mul_f32_e32 v58, v44, v92
	v_mul_f32_e32 v46, v54, v92
	v_fmac_f32_e32 v58, v54, v91
	v_fma_f32 v54, v44, v91, -v46
	s_waitcnt vmcnt(0)
	v_mul_f32_e32 v44, v55, v110
	v_fma_f32 v80, v45, v109, -v44
	v_mul_f32_e32 v44, v52, v112
	v_mul_f32_e32 v83, v30, v112
	v_fma_f32 v84, v30, v111, -v44
	v_mul_f32_e32 v30, v53, v106
	v_fma_f32 v86, v31, v105, -v30
	v_mul_f32_e32 v30, v75, v108
	v_mul_f32_e32 v87, v88, v108
	v_fma_f32 v88, v88, v107, -v30
	v_mul_f32_e32 v30, v40, v102
	v_fmac_f32_e32 v83, v52, v111
	v_fma_f32 v52, v42, v101, -v30
	v_mul_f32_e32 v30, v41, v104
	v_fma_f32 v48, v43, v103, -v30
	v_mul_f32_e32 v30, v36, v98
	v_mul_f32_e32 v49, v47, v90
	;; [unrolled: 1-line block ×6, first 2 shown]
	v_fma_f32 v45, v26, v97, -v30
	v_mul_f32_e32 v26, v37, v100
	v_fmac_f32_e32 v51, v40, v101
	v_fmac_f32_e32 v47, v41, v103
	v_mul_f32_e32 v40, v27, v100
	v_fma_f32 v41, v27, v99, -v26
	v_mul_f32_e32 v26, v32, v94
	v_fmac_f32_e32 v44, v36, v97
	v_fmac_f32_e32 v40, v37, v99
	v_mul_f32_e32 v36, v22, v94
	v_fma_f32 v37, v22, v93, -v26
	v_mul_f32_e32 v22, v33, v96
	v_mul_f32_e32 v85, v31, v106
	;; [unrolled: 1-line block ×3, first 2 shown]
	v_fma_f32 v31, v23, v95, -v22
	v_mul_f32_e32 v22, v28, v90
	v_fmac_f32_e32 v36, v32, v93
	v_fmac_f32_e32 v30, v33, v95
	v_mul_f32_e32 v32, v18, v90
	v_fma_f32 v33, v18, v89, -v22
	v_mul_f32_e32 v18, v29, v92
	v_fma_f32 v43, v19, v91, -v18
	v_mul_f32_e32 v46, v24, v110
	v_mul_f32_e32 v18, v38, v110
	v_fmac_f32_e32 v85, v53, v105
	v_fmac_f32_e32 v46, v38, v109
	v_fma_f32 v38, v24, v109, -v18
	v_mul_f32_e32 v53, v25, v112
	v_mul_f32_e32 v18, v39, v112
	v_fmac_f32_e32 v79, v55, v109
	v_fmac_f32_e32 v53, v39, v111
	v_fma_f32 v39, v25, v111, -v18
	v_mul_f32_e32 v55, v20, v106
	v_mul_f32_e32 v18, v34, v106
	;; [unrolled: 1-line block ×3, first 2 shown]
	v_fmac_f32_e32 v55, v34, v105
	v_fma_f32 v34, v20, v105, -v18
	v_mul_f32_e32 v18, v35, v108
	v_sub_f32_e32 v20, v82, v88
	v_fmac_f32_e32 v49, v59, v89
	v_fmac_f32_e32 v87, v75, v107
	v_fmac_f32_e32 v42, v29, v91
	v_mul_f32_e32 v59, v21, v108
	v_fma_f32 v75, v21, v107, -v18
	v_mul_f32_e32 v21, 0xbeedf032, v20
	v_mul_f32_e32 v23, 0xbf52af12, v20
	;; [unrolled: 1-line block ×6, first 2 shown]
	v_fmac_f32_e32 v32, v28, v89
	v_fmac_f32_e32 v59, v35, v107
	v_add_f32_e32 v19, v81, v87
	v_mov_b32_e32 v22, v21
	v_mov_b32_e32 v24, v23
	;; [unrolled: 1-line block ×6, first 2 shown]
	v_fmac_f32_e32 v22, 0x3f62ad3f, v19
	v_fma_f32 v21, v19, s6, -v21
	v_fmac_f32_e32 v24, 0x3f116cb1, v19
	v_fma_f32 v23, v19, s7, -v23
	;; [unrolled: 2-line block ×6, first 2 shown]
	v_sub_f32_e32 v20, v78, v86
	v_add_f32_e32 v18, v16, v81
	v_add_f32_e32 v22, v16, v22
	;; [unrolled: 1-line block ×14, first 2 shown]
	v_mul_f32_e32 v90, 0xbf52af12, v20
	v_mov_b32_e32 v91, v90
	v_fma_f32 v90, v19, s7, -v90
	v_fmac_f32_e32 v91, 0x3f116cb1, v19
	v_add_f32_e32 v21, v90, v21
	v_mul_f32_e32 v90, 0xbf6f5d39, v20
	v_add_f32_e32 v22, v91, v22
	v_mov_b32_e32 v91, v90
	v_fma_f32 v90, v19, s9, -v90
	v_fmac_f32_e32 v91, 0xbeb58ec6, v19
	v_add_f32_e32 v23, v90, v23
	v_mul_f32_e32 v90, 0xbe750f2a, v20
	v_add_f32_e32 v24, v91, v24
	v_mov_b32_e32 v91, v90
	v_fma_f32 v90, v19, s15, -v90
	v_fmac_f32_e32 v91, 0xbf788fa5, v19
	v_add_f32_e32 v25, v90, v25
	v_mul_f32_e32 v90, 0x3f29c268, v20
	v_add_f32_e32 v26, v91, v26
	v_mov_b32_e32 v91, v90
	v_fma_f32 v90, v19, s14, -v90
	v_fmac_f32_e32 v91, 0xbf3f9e67, v19
	v_add_f32_e32 v27, v90, v27
	v_mul_f32_e32 v90, 0x3f7e222b, v20
	v_add_f32_e32 v28, v91, v28
	v_mov_b32_e32 v91, v90
	v_fma_f32 v90, v19, s8, -v90
	v_mul_f32_e32 v20, 0x3eedf032, v20
	v_add_f32_e32 v29, v90, v29
	v_mov_b32_e32 v90, v20
	v_fmac_f32_e32 v91, 0x3df6dbef, v19
	v_fmac_f32_e32 v90, 0x3f62ad3f, v19
	v_fma_f32 v19, v19, s6, -v20
	v_sub_f32_e32 v20, v76, v84
	v_add_f32_e32 v89, v90, v89
	v_add_f32_e32 v16, v19, v16
	v_add_f32_e32 v19, v74, v83
	v_mul_f32_e32 v90, 0xbf7e222b, v20
	v_add_f32_e32 v35, v91, v35
	v_mov_b32_e32 v91, v90
	v_fma_f32 v90, v19, s8, -v90
	v_fmac_f32_e32 v91, 0x3df6dbef, v19
	v_add_f32_e32 v21, v90, v21
	v_mul_f32_e32 v90, 0xbe750f2a, v20
	v_add_f32_e32 v22, v91, v22
	v_mov_b32_e32 v91, v90
	v_fma_f32 v90, v19, s15, -v90
	v_fmac_f32_e32 v91, 0xbf788fa5, v19
	v_add_f32_e32 v23, v90, v23
	v_mul_f32_e32 v90, 0x3f6f5d39, v20
	v_add_f32_e32 v24, v91, v24
	v_mov_b32_e32 v91, v90
	v_fma_f32 v90, v19, s9, -v90
	v_fmac_f32_e32 v91, 0xbeb58ec6, v19
	v_add_f32_e32 v25, v90, v25
	v_mul_f32_e32 v90, 0x3eedf032, v20
	v_add_f32_e32 v26, v91, v26
	v_mov_b32_e32 v91, v90
	v_fma_f32 v90, v19, s6, -v90
	v_fmac_f32_e32 v91, 0x3f62ad3f, v19
	v_add_f32_e32 v27, v90, v27
	v_mul_f32_e32 v90, 0xbf52af12, v20
	v_add_f32_e32 v28, v91, v28
	v_mov_b32_e32 v91, v90
	v_fma_f32 v90, v19, s7, -v90
	v_mul_f32_e32 v20, 0xbf29c268, v20
	v_add_f32_e32 v29, v90, v29
	v_mov_b32_e32 v90, v20
	v_fmac_f32_e32 v91, 0x3f116cb1, v19
	v_fmac_f32_e32 v90, 0xbf3f9e67, v19
	v_fma_f32 v19, v19, s14, -v20
	v_sub_f32_e32 v20, v63, v80
	v_add_f32_e32 v89, v90, v89
	v_add_f32_e32 v16, v19, v16
	v_add_f32_e32 v19, v62, v79
	v_mul_f32_e32 v90, 0xbf6f5d39, v20
	v_add_f32_e32 v35, v91, v35
	;; [unrolled: 38-line block ×4, first 2 shown]
	v_mov_b32_e32 v91, v90
	v_fma_f32 v90, v19, s15, -v90
	v_fmac_f32_e32 v91, 0xbf788fa5, v19
	v_add_f32_e32 v21, v90, v21
	v_mul_f32_e32 v90, 0x3eedf032, v20
	v_add_f32_e32 v22, v91, v22
	v_mov_b32_e32 v91, v90
	v_fma_f32 v90, v19, s6, -v90
	v_fmac_f32_e32 v91, 0x3f62ad3f, v19
	v_add_f32_e32 v23, v90, v23
	v_mul_f32_e32 v90, 0xbf29c268, v20
	v_add_f32_e32 v18, v18, v77
	v_add_f32_e32 v24, v91, v24
	v_mov_b32_e32 v91, v90
	v_fma_f32 v90, v19, s14, -v90
	v_add_f32_e32 v18, v18, v74
	v_fmac_f32_e32 v91, 0xbf3f9e67, v19
	v_add_f32_e32 v25, v90, v25
	v_mul_f32_e32 v90, 0x3f52af12, v20
	v_add_f32_e32 v18, v18, v62
	v_add_f32_e32 v26, v91, v26
	v_mov_b32_e32 v91, v90
	v_fma_f32 v90, v19, s7, -v90
	v_add_f32_e32 v18, v18, v60
	v_fmac_f32_e32 v91, 0x3f116cb1, v19
	v_add_f32_e32 v27, v90, v27
	v_mul_f32_e32 v90, 0xbf6f5d39, v20
	v_add_f32_e32 v18, v18, v15
	v_add_f32_e32 v28, v91, v28
	v_mov_b32_e32 v91, v90
	v_fma_f32 v90, v19, s9, -v90
	v_mul_f32_e32 v20, 0x3f7e222b, v20
	v_add_f32_e32 v18, v18, v49
	v_add_f32_e32 v29, v90, v29
	v_mov_b32_e32 v90, v20
	v_add_f32_e32 v18, v18, v58
	v_fmac_f32_e32 v91, 0xbeb58ec6, v19
	v_fmac_f32_e32 v90, 0x3df6dbef, v19
	v_fma_f32 v19, v19, s8, -v20
	v_add_f32_e32 v18, v18, v79
	v_add_f32_e32 v16, v19, v16
	v_lshrrev_b32_e32 v19, 2, v64
	v_add_f32_e32 v18, v18, v83
	v_mul_u32_u24_e32 v19, 52, v19
	v_add_f32_e32 v18, v18, v85
	v_or_b32_e32 v19, v19, v56
	v_add_f32_e32 v18, v18, v87
	v_add_f32_e32 v35, v91, v35
	v_add_f32_e32 v90, v90, v89
	v_lshl_add_u32 v89, v19, 2, 0
	ds_write2_b32 v89, v18, v22 offset1:4
	ds_write2_b32 v89, v24, v26 offset0:8 offset1:12
	ds_write2_b32 v89, v28, v35 offset0:16 offset1:20
	;; [unrolled: 1-line block ×5, first 2 shown]
	ds_write_b32 v89, v21 offset:192
	v_lshrrev_b32_e32 v35, 2, v72
	s_and_saveexec_b64 s[2:3], s[0:1]
	s_cbranch_execz .LBB0_33
; %bb.32:
	v_sub_f32_e32 v18, v52, v75
	v_add_f32_e32 v16, v51, v59
	v_mul_f32_e32 v19, 0xbe750f2a, v18
	v_sub_f32_e32 v22, v48, v34
	v_fma_f32 v20, v16, s15, -v19
	v_add_f32_e32 v21, v47, v55
	v_mul_f32_e32 v23, 0x3eedf032, v22
	v_add_f32_e32 v20, v73, v20
	v_fma_f32 v24, v21, s6, -v23
	v_sub_f32_e32 v25, v45, v39
	v_add_f32_e32 v20, v24, v20
	v_add_f32_e32 v24, v44, v53
	v_mul_f32_e32 v26, 0xbf29c268, v25
	v_fma_f32 v27, v24, s14, -v26
	v_sub_f32_e32 v28, v41, v38
	v_fmac_f32_e32 v19, 0xbf788fa5, v16
	v_add_f32_e32 v20, v27, v20
	v_add_f32_e32 v27, v40, v46
	v_mul_f32_e32 v29, 0x3f52af12, v28
	v_add_f32_e32 v19, v73, v19
	v_fmac_f32_e32 v23, 0x3f62ad3f, v21
	v_fma_f32 v72, v27, s7, -v29
	v_sub_f32_e32 v90, v37, v43
	v_add_f32_e32 v19, v23, v19
	v_fmac_f32_e32 v26, 0xbf3f9e67, v24
	v_add_f32_e32 v20, v72, v20
	v_add_f32_e32 v72, v36, v42
	v_mul_f32_e32 v91, 0xbf6f5d39, v90
	v_add_f32_e32 v19, v26, v19
	v_fmac_f32_e32 v29, 0x3f116cb1, v27
	v_mul_f32_e32 v23, 0xbf29c268, v18
	v_fma_f32 v92, v72, s9, -v91
	v_sub_f32_e32 v93, v31, v33
	v_add_f32_e32 v19, v29, v19
	v_fmac_f32_e32 v91, 0xbeb58ec6, v72
	v_fma_f32 v26, v16, s14, -v23
	v_mul_f32_e32 v29, 0x3f7e222b, v22
	v_add_f32_e32 v20, v92, v20
	v_add_f32_e32 v92, v30, v32
	v_mul_f32_e32 v94, 0x3f7e222b, v93
	v_add_f32_e32 v19, v91, v19
	v_add_f32_e32 v26, v73, v26
	v_fma_f32 v91, v21, s8, -v29
	v_fma_f32 v95, v92, s8, -v94
	v_fmac_f32_e32 v94, 0x3df6dbef, v92
	v_add_f32_e32 v26, v91, v26
	v_mul_f32_e32 v91, 0xbf52af12, v25
	v_add_f32_e32 v19, v94, v19
	v_fma_f32 v94, v24, s7, -v91
	v_fmac_f32_e32 v23, 0xbf3f9e67, v16
	v_add_f32_e32 v26, v94, v26
	v_mul_f32_e32 v94, 0x3e750f2a, v28
	v_add_f32_e32 v23, v73, v23
	v_fmac_f32_e32 v29, 0x3df6dbef, v21
	v_add_f32_e32 v20, v95, v20
	v_fma_f32 v95, v27, s15, -v94
	v_add_f32_e32 v23, v29, v23
	v_fmac_f32_e32 v91, 0x3f116cb1, v24
	v_add_f32_e32 v26, v95, v26
	v_mul_f32_e32 v95, 0x3eedf032, v90
	v_add_f32_e32 v23, v91, v23
	v_fmac_f32_e32 v94, 0xbf788fa5, v27
	v_mul_f32_e32 v29, 0xbf6f5d39, v18
	v_fma_f32 v96, v72, s6, -v95
	v_add_f32_e32 v23, v94, v23
	v_fmac_f32_e32 v95, 0x3f62ad3f, v72
	v_fma_f32 v91, v16, s9, -v29
	v_mul_f32_e32 v94, 0x3f29c268, v22
	v_add_f32_e32 v26, v96, v26
	v_mul_f32_e32 v96, 0xbf6f5d39, v93
	v_add_f32_e32 v23, v95, v23
	v_add_f32_e32 v91, v73, v91
	v_fma_f32 v95, v21, s14, -v94
	v_fma_f32 v97, v92, s9, -v96
	v_fmac_f32_e32 v96, 0xbeb58ec6, v92
	v_add_f32_e32 v91, v95, v91
	v_mul_f32_e32 v95, 0x3eedf032, v25
	v_add_f32_e32 v23, v96, v23
	v_fma_f32 v96, v24, s6, -v95
	v_fmac_f32_e32 v29, 0xbeb58ec6, v16
	v_add_f32_e32 v91, v96, v91
	v_mul_f32_e32 v96, 0xbf7e222b, v28
	v_add_f32_e32 v29, v73, v29
	v_fmac_f32_e32 v94, 0xbf3f9e67, v21
	v_add_f32_e32 v26, v97, v26
	v_fma_f32 v97, v27, s8, -v96
	v_add_f32_e32 v29, v94, v29
	v_fmac_f32_e32 v95, 0x3f62ad3f, v24
	v_add_f32_e32 v91, v97, v91
	v_mul_f32_e32 v97, 0x3e750f2a, v90
	v_add_f32_e32 v29, v95, v29
	v_fmac_f32_e32 v96, 0x3df6dbef, v27
	v_mul_f32_e32 v94, 0xbf7e222b, v18
	v_fma_f32 v98, v72, s15, -v97
	v_add_f32_e32 v29, v96, v29
	v_fmac_f32_e32 v97, 0xbf788fa5, v72
	v_fma_f32 v95, v16, s8, -v94
	v_mul_f32_e32 v96, 0xbe750f2a, v22
	;; [unrolled: 30-line block ×3, first 2 shown]
	v_fmac_f32_e32 v96, 0x3f116cb1, v16
	v_add_f32_e32 v94, v99, v94
	v_fma_f32 v99, v21, s9, -v98
	v_add_f32_e32 v96, v73, v96
	v_fmac_f32_e32 v98, 0xbeb58ec6, v21
	v_mul_f32_e32 v18, 0xbeedf032, v18
	v_add_f32_e32 v96, v98, v96
	v_fma_f32 v98, v16, s6, -v18
	v_fmac_f32_e32 v18, 0x3f62ad3f, v16
	v_add_f32_e32 v16, v73, v18
	v_add_f32_e32 v18, v73, v51
	;; [unrolled: 1-line block ×4, first 2 shown]
	v_mul_f32_e32 v100, 0xbf29c268, v93
	v_add_f32_e32 v97, v73, v97
	v_add_f32_e32 v18, v18, v44
	v_fma_f32 v101, v92, s14, -v100
	v_fmac_f32_e32 v100, 0xbf3f9e67, v92
	v_add_f32_e32 v97, v99, v97
	v_mul_f32_e32 v99, 0xbe750f2a, v25
	v_add_f32_e32 v18, v18, v40
	v_add_f32_e32 v94, v100, v94
	v_fma_f32 v100, v24, s15, -v99
	v_add_f32_e32 v18, v18, v36
	v_add_f32_e32 v97, v100, v97
	v_mul_f32_e32 v100, 0x3f29c268, v28
	v_fmac_f32_e32 v99, 0xbf788fa5, v24
	v_mul_f32_e32 v22, 0xbf52af12, v22
	v_add_f32_e32 v18, v18, v30
	v_add_f32_e32 v95, v101, v95
	v_fma_f32 v101, v27, s14, -v100
	v_add_f32_e32 v96, v99, v96
	v_add_f32_e32 v98, v73, v98
	v_fma_f32 v99, v21, s7, -v22
	v_mul_f32_e32 v25, 0xbf7e222b, v25
	v_fmac_f32_e32 v22, 0x3f116cb1, v21
	v_add_f32_e32 v18, v18, v32
	v_mul_lo_u32 v21, v35, 52
	v_add_f32_e32 v97, v101, v97
	v_mul_f32_e32 v101, 0x3f7e222b, v90
	v_add_f32_e32 v98, v99, v98
	v_fma_f32 v99, v24, s8, -v25
	v_mul_f32_e32 v28, 0xbf6f5d39, v28
	v_add_f32_e32 v16, v22, v16
	v_fmac_f32_e32 v25, 0x3df6dbef, v24
	v_add_f32_e32 v18, v18, v42
	v_fma_f32 v102, v72, s8, -v101
	v_add_f32_e32 v98, v99, v98
	v_fma_f32 v99, v27, s9, -v28
	v_mul_f32_e32 v90, 0xbf29c268, v90
	v_add_f32_e32 v16, v25, v16
	v_fmac_f32_e32 v28, 0xbeb58ec6, v27
	v_add_f32_e32 v18, v18, v46
	v_add_f32_e32 v97, v102, v97
	v_mul_f32_e32 v102, 0x3eedf032, v93
	v_fmac_f32_e32 v100, 0xbf3f9e67, v27
	v_add_f32_e32 v98, v99, v98
	v_fma_f32 v99, v72, s14, -v90
	v_mul_f32_e32 v93, 0xbe750f2a, v93
	v_add_f32_e32 v16, v28, v16
	v_fmac_f32_e32 v90, 0xbf3f9e67, v72
	v_add_f32_e32 v18, v18, v53
	v_add_f32_e32 v96, v100, v96
	v_fmac_f32_e32 v101, 0x3df6dbef, v72
	v_add_f32_e32 v98, v99, v98
	v_fma_f32 v99, v92, s15, -v93
	v_add_f32_e32 v16, v90, v16
	v_fmac_f32_e32 v93, 0xbf788fa5, v92
	v_add_f32_e32 v18, v18, v55
	v_or_b32_e32 v21, v21, v56
	v_fma_f32 v103, v92, s6, -v102
	v_add_f32_e32 v96, v101, v96
	v_fmac_f32_e32 v102, 0x3f62ad3f, v92
	v_add_f32_e32 v16, v93, v16
	v_add_f32_e32 v18, v18, v59
	v_lshl_add_u32 v21, v21, 2, 0
	v_add_f32_e32 v97, v103, v97
	v_add_f32_e32 v96, v102, v96
	v_add_f32_e32 v98, v99, v98
	ds_write2_b32 v21, v18, v16 offset1:4
	ds_write2_b32 v21, v96, v94 offset0:8 offset1:12
	ds_write2_b32 v21, v29, v23 offset0:16 offset1:20
	;; [unrolled: 1-line block ×5, first 2 shown]
	ds_write_b32 v21, v98 offset:192
.LBB0_33:
	s_or_b64 exec, exec, s[2:3]
	v_add_f32_e32 v16, v14, v82
	v_add_f32_e32 v16, v16, v78
	;; [unrolled: 1-line block ×13, first 2 shown]
	v_mul_f32_e32 v19, 0x3f62ad3f, v16
	v_mul_f32_e32 v21, 0x3f116cb1, v16
	;; [unrolled: 1-line block ×6, first 2 shown]
	v_sub_f32_e32 v18, v81, v87
	v_mov_b32_e32 v20, v19
	v_mov_b32_e32 v22, v21
	;; [unrolled: 1-line block ×6, first 2 shown]
	v_fmac_f32_e32 v20, 0x3eedf032, v18
	v_fmac_f32_e32 v19, 0xbeedf032, v18
	;; [unrolled: 1-line block ×12, first 2 shown]
	v_add_f32_e32 v20, v14, v20
	v_add_f32_e32 v19, v14, v19
	;; [unrolled: 1-line block ×13, first 2 shown]
	v_sub_f32_e32 v18, v77, v85
	v_mul_f32_e32 v72, 0x3f116cb1, v16
	v_mov_b32_e32 v73, v72
	v_fmac_f32_e32 v72, 0xbf52af12, v18
	v_fmac_f32_e32 v73, 0x3f52af12, v18
	v_add_f32_e32 v19, v72, v19
	v_mul_f32_e32 v72, 0xbeb58ec6, v16
	v_add_f32_e32 v20, v73, v20
	v_mov_b32_e32 v73, v72
	v_fmac_f32_e32 v72, 0xbf6f5d39, v18
	v_fmac_f32_e32 v73, 0x3f6f5d39, v18
	v_add_f32_e32 v21, v72, v21
	v_mul_f32_e32 v72, 0xbf788fa5, v16
	v_add_f32_e32 v22, v73, v22
	;; [unrolled: 6-line block ×4, first 2 shown]
	v_mov_b32_e32 v73, v72
	v_fmac_f32_e32 v72, 0x3f7e222b, v18
	v_mul_f32_e32 v16, 0x3f62ad3f, v16
	v_add_f32_e32 v27, v72, v27
	v_mov_b32_e32 v72, v16
	v_fmac_f32_e32 v16, 0x3eedf032, v18
	v_fmac_f32_e32 v72, 0xbeedf032, v18
	v_add_f32_e32 v14, v16, v14
	v_add_f32_e32 v16, v76, v84
	v_fmac_f32_e32 v73, 0xbf7e222b, v18
	v_add_f32_e32 v29, v72, v29
	v_sub_f32_e32 v18, v74, v83
	v_mul_f32_e32 v72, 0x3df6dbef, v16
	v_add_f32_e32 v28, v73, v28
	v_mov_b32_e32 v73, v72
	v_fmac_f32_e32 v72, 0xbf7e222b, v18
	v_fmac_f32_e32 v73, 0x3f7e222b, v18
	v_add_f32_e32 v19, v72, v19
	v_mul_f32_e32 v72, 0xbf788fa5, v16
	v_add_f32_e32 v20, v73, v20
	v_mov_b32_e32 v73, v72
	v_fmac_f32_e32 v72, 0xbe750f2a, v18
	v_fmac_f32_e32 v73, 0x3e750f2a, v18
	v_add_f32_e32 v21, v72, v21
	;; [unrolled: 6-line block ×4, first 2 shown]
	v_mul_f32_e32 v72, 0x3f116cb1, v16
	v_add_f32_e32 v26, v73, v26
	v_mov_b32_e32 v73, v72
	v_fmac_f32_e32 v72, 0xbf52af12, v18
	v_mul_f32_e32 v16, 0xbf3f9e67, v16
	v_add_f32_e32 v27, v72, v27
	v_mov_b32_e32 v72, v16
	v_fmac_f32_e32 v16, 0xbf29c268, v18
	v_add_f32_e32 v14, v16, v14
	v_add_f32_e32 v16, v63, v80
	v_fmac_f32_e32 v73, 0x3f52af12, v18
	v_fmac_f32_e32 v72, 0x3f29c268, v18
	v_sub_f32_e32 v18, v62, v79
	v_mul_f32_e32 v62, 0xbeb58ec6, v16
	v_mov_b32_e32 v63, v62
	v_fmac_f32_e32 v62, 0xbf6f5d39, v18
	v_fmac_f32_e32 v63, 0x3f6f5d39, v18
	v_add_f32_e32 v19, v62, v19
	v_mul_f32_e32 v62, 0xbf3f9e67, v16
	v_add_f32_e32 v20, v63, v20
	v_mov_b32_e32 v63, v62
	v_fmac_f32_e32 v62, 0x3f29c268, v18
	v_fmac_f32_e32 v63, 0xbf29c268, v18
	v_add_f32_e32 v21, v62, v21
	v_mul_f32_e32 v62, 0x3f62ad3f, v16
	v_add_f32_e32 v22, v63, v22
	;; [unrolled: 6-line block ×4, first 2 shown]
	v_mov_b32_e32 v63, v62
	v_fmac_f32_e32 v62, 0x3e750f2a, v18
	v_mul_f32_e32 v16, 0x3f116cb1, v16
	v_add_f32_e32 v27, v62, v27
	v_mov_b32_e32 v62, v16
	v_fmac_f32_e32 v16, 0x3f52af12, v18
	v_add_f32_e32 v14, v16, v14
	v_add_f32_e32 v16, v61, v54
	v_fmac_f32_e32 v63, 0xbe750f2a, v18
	v_fmac_f32_e32 v62, 0xbf52af12, v18
	v_sub_f32_e32 v18, v60, v58
	v_mul_f32_e32 v54, 0xbf3f9e67, v16
	v_mov_b32_e32 v58, v54
	v_fmac_f32_e32 v54, 0xbf29c268, v18
	v_fmac_f32_e32 v58, 0x3f29c268, v18
	v_add_f32_e32 v19, v54, v19
	v_mul_f32_e32 v54, 0x3df6dbef, v16
	v_add_f32_e32 v20, v58, v20
	v_mov_b32_e32 v58, v54
	v_fmac_f32_e32 v54, 0x3f7e222b, v18
	v_fmac_f32_e32 v58, 0xbf7e222b, v18
	v_add_f32_e32 v21, v54, v21
	v_mul_f32_e32 v54, 0x3f116cb1, v16
	v_add_f32_e32 v22, v58, v22
	;; [unrolled: 6-line block ×4, first 2 shown]
	v_mov_b32_e32 v58, v54
	v_fmac_f32_e32 v54, 0x3eedf032, v18
	v_mul_f32_e32 v16, 0xbeb58ec6, v16
	v_add_f32_e32 v27, v54, v27
	v_mov_b32_e32 v54, v16
	v_fmac_f32_e32 v16, 0xbf6f5d39, v18
	v_add_f32_e32 v14, v16, v14
	v_add_f32_e32 v16, v17, v50
	v_sub_f32_e32 v15, v15, v49
	v_mul_f32_e32 v17, 0xbf788fa5, v16
	v_fmac_f32_e32 v58, 0xbeedf032, v18
	v_fmac_f32_e32 v54, 0x3f6f5d39, v18
	v_mov_b32_e32 v18, v17
	v_fmac_f32_e32 v17, 0xbe750f2a, v15
	v_fmac_f32_e32 v18, 0x3e750f2a, v15
	v_add_f32_e32 v76, v17, v19
	v_mul_f32_e32 v17, 0x3f62ad3f, v16
	v_add_f32_e32 v74, v18, v20
	v_mov_b32_e32 v18, v17
	v_fmac_f32_e32 v17, 0x3eedf032, v15
	v_fmac_f32_e32 v18, 0xbeedf032, v15
	v_add_f32_e32 v78, v17, v21
	v_mul_f32_e32 v17, 0xbf3f9e67, v16
	v_add_f32_e32 v77, v18, v22
	;; [unrolled: 6-line block ×4, first 2 shown]
	v_add_f32_e32 v29, v72, v29
	v_add_f32_e32 v81, v18, v26
	v_mov_b32_e32 v18, v17
	v_fmac_f32_e32 v17, 0xbf6f5d39, v15
	v_mul_f32_e32 v16, 0x3df6dbef, v16
	v_add_f32_e32 v28, v63, v28
	v_add_f32_e32 v29, v62, v29
	;; [unrolled: 1-line block ×3, first 2 shown]
	v_mov_b32_e32 v17, v16
	v_add_f32_e32 v28, v58, v28
	v_add_f32_e32 v29, v54, v29
	v_fmac_f32_e32 v18, 0x3f6f5d39, v15
	v_fmac_f32_e32 v17, 0xbf7e222b, v15
	;; [unrolled: 1-line block ×3, first 2 shown]
	v_add_u32_e32 v49, 0x800, v0
	v_add_u32_e32 v54, 0xc00, v0
	;; [unrolled: 1-line block ×5, first 2 shown]
	v_add_f32_e32 v83, v18, v28
	v_add_f32_e32 v85, v17, v29
	;; [unrolled: 1-line block ×3, first 2 shown]
	s_waitcnt lgkmcnt(0)
	; wave barrier
	s_waitcnt lgkmcnt(0)
	ds_read2_b32 v[14:15], v0 offset1:208
	ds_read_b32 v62, v71
	ds_read_b32 v61, v8
	ds_read2_b32 v[20:21], v49 offset0:60 offset1:112
	ds_read2_b32 v[28:29], v54 offset0:12 offset1:64
	;; [unrolled: 1-line block ×3, first 2 shown]
	ds_read_b32 v60, v67
	ds_read2_b32 v[24:25], v50 offset0:4 offset1:108
	ds_read2_b32 v[26:27], v72 offset0:32 offset1:136
	;; [unrolled: 1-line block ×4, first 2 shown]
	ds_read_b32 v63, v68
	ds_read_b32 v58, v10
	s_waitcnt lgkmcnt(0)
	; wave barrier
	s_waitcnt lgkmcnt(0)
	ds_write2_b32 v89, v90, v74 offset1:4
	ds_write2_b32 v89, v77, v79 offset0:8 offset1:12
	ds_write2_b32 v89, v81, v83 offset0:16 offset1:20
	;; [unrolled: 1-line block ×5, first 2 shown]
	ds_write_b32 v89, v76 offset:192
	s_and_saveexec_b64 s[2:3], s[0:1]
	s_cbranch_execz .LBB0_35
; %bb.34:
	v_add_f32_e32 v74, v57, v52
	v_add_f32_e32 v74, v74, v48
	;; [unrolled: 1-line block ×12, first 2 shown]
	v_sub_f32_e32 v51, v51, v59
	v_mul_f32_e32 v59, 0x3f62ad3f, v52
	v_mul_f32_e32 v76, 0x3f116cb1, v52
	;; [unrolled: 1-line block ×6, first 2 shown]
	v_add_f32_e32 v34, v48, v34
	v_add_f32_e32 v74, v74, v75
	v_mov_b32_e32 v75, v59
	v_fmac_f32_e32 v59, 0xbeedf032, v51
	v_mov_b32_e32 v77, v76
	v_mov_b32_e32 v79, v78
	;; [unrolled: 1-line block ×5, first 2 shown]
	v_fmac_f32_e32 v52, 0xbe750f2a, v51
	v_sub_f32_e32 v47, v47, v55
	v_mul_f32_e32 v48, 0x3f116cb1, v34
	v_fmac_f32_e32 v75, 0x3eedf032, v51
	v_add_f32_e32 v59, v57, v59
	v_fmac_f32_e32 v77, 0x3f52af12, v51
	v_fmac_f32_e32 v76, 0xbf52af12, v51
	v_fmac_f32_e32 v79, 0x3f7e222b, v51
	v_fmac_f32_e32 v78, 0xbf7e222b, v51
	v_fmac_f32_e32 v81, 0x3f6f5d39, v51
	v_fmac_f32_e32 v80, 0xbf6f5d39, v51
	v_fmac_f32_e32 v83, 0x3f29c268, v51
	v_fmac_f32_e32 v82, 0xbf29c268, v51
	v_fmac_f32_e32 v84, 0x3e750f2a, v51
	v_add_f32_e32 v51, v57, v52
	v_mov_b32_e32 v52, v48
	v_fmac_f32_e32 v48, 0xbf52af12, v47
	v_mul_f32_e32 v55, 0xbeb58ec6, v34
	v_add_f32_e32 v75, v57, v75
	v_add_f32_e32 v77, v57, v77
	;; [unrolled: 1-line block ×10, first 2 shown]
	v_fmac_f32_e32 v52, 0x3f52af12, v47
	v_add_f32_e32 v48, v48, v59
	v_mov_b32_e32 v57, v55
	v_fmac_f32_e32 v55, 0xbf6f5d39, v47
	v_mul_f32_e32 v59, 0xbf788fa5, v34
	v_add_f32_e32 v52, v52, v75
	v_fmac_f32_e32 v57, 0x3f6f5d39, v47
	v_add_f32_e32 v55, v55, v76
	v_mov_b32_e32 v75, v59
	v_fmac_f32_e32 v59, 0xbe750f2a, v47
	v_mul_f32_e32 v76, 0xbf3f9e67, v34
	v_add_f32_e32 v57, v57, v77
	v_fmac_f32_e32 v75, 0x3e750f2a, v47
	v_add_f32_e32 v59, v59, v78
	v_mov_b32_e32 v77, v76
	v_fmac_f32_e32 v76, 0x3f29c268, v47
	v_mul_f32_e32 v78, 0x3df6dbef, v34
	v_mul_f32_e32 v34, 0x3f62ad3f, v34
	v_add_f32_e32 v39, v45, v39
	v_add_f32_e32 v75, v75, v79
	;; [unrolled: 1-line block ×3, first 2 shown]
	v_mov_b32_e32 v79, v78
	v_mov_b32_e32 v80, v34
	v_sub_f32_e32 v44, v44, v53
	v_mul_f32_e32 v45, 0x3df6dbef, v39
	v_fmac_f32_e32 v77, 0xbf29c268, v47
	v_fmac_f32_e32 v79, 0xbf7e222b, v47
	v_fmac_f32_e32 v78, 0x3f7e222b, v47
	v_fmac_f32_e32 v80, 0xbeedf032, v47
	v_fmac_f32_e32 v34, 0x3eedf032, v47
	v_mov_b32_e32 v47, v45
	v_fmac_f32_e32 v45, 0xbf7e222b, v44
	v_fmac_f32_e32 v47, 0x3f7e222b, v44
	v_add_f32_e32 v45, v45, v48
	v_mul_f32_e32 v48, 0xbf788fa5, v39
	v_add_f32_e32 v34, v34, v51
	v_add_f32_e32 v47, v47, v52
	v_mov_b32_e32 v51, v48
	v_fmac_f32_e32 v48, 0xbe750f2a, v44
	v_mul_f32_e32 v52, 0xbeb58ec6, v39
	v_fmac_f32_e32 v51, 0x3e750f2a, v44
	v_add_f32_e32 v48, v48, v55
	v_mov_b32_e32 v53, v52
	v_fmac_f32_e32 v52, 0x3f6f5d39, v44
	v_mul_f32_e32 v55, 0x3f62ad3f, v39
	v_add_f32_e32 v51, v51, v57
	v_add_f32_e32 v52, v52, v59
	v_mov_b32_e32 v57, v55
	v_fmac_f32_e32 v55, 0x3eedf032, v44
	v_mul_f32_e32 v59, 0x3f116cb1, v39
	v_mul_f32_e32 v39, 0xbf3f9e67, v39
	v_fmac_f32_e32 v53, 0xbf6f5d39, v44
	v_add_f32_e32 v55, v55, v76
	v_mov_b32_e32 v76, v39
	v_fmac_f32_e32 v39, 0xbf29c268, v44
	v_add_f32_e32 v38, v41, v38
	v_add_f32_e32 v53, v53, v75
	v_mov_b32_e32 v75, v59
	v_add_f32_e32 v34, v39, v34
	v_sub_f32_e32 v39, v40, v46
	v_mul_f32_e32 v40, 0xbeb58ec6, v38
	v_fmac_f32_e32 v57, 0xbeedf032, v44
	v_fmac_f32_e32 v75, 0x3f52af12, v44
	;; [unrolled: 1-line block ×4, first 2 shown]
	v_mov_b32_e32 v41, v40
	v_fmac_f32_e32 v40, 0xbf6f5d39, v39
	v_mul_f32_e32 v44, 0xbf3f9e67, v38
	v_fmac_f32_e32 v41, 0x3f6f5d39, v39
	v_add_f32_e32 v40, v40, v45
	v_mov_b32_e32 v45, v44
	v_fmac_f32_e32 v44, 0x3f29c268, v39
	v_mul_f32_e32 v46, 0x3f62ad3f, v38
	v_add_f32_e32 v41, v41, v47
	v_fmac_f32_e32 v45, 0xbf29c268, v39
	v_add_f32_e32 v44, v44, v48
	v_mov_b32_e32 v47, v46
	v_fmac_f32_e32 v46, 0x3eedf032, v39
	v_mul_f32_e32 v48, 0x3df6dbef, v38
	v_add_f32_e32 v45, v45, v51
	v_add_f32_e32 v46, v46, v52
	v_mov_b32_e32 v51, v48
	v_fmac_f32_e32 v48, 0xbf7e222b, v39
	v_mul_f32_e32 v52, 0xbf788fa5, v38
	v_mul_f32_e32 v38, 0x3f116cb1, v38
	v_fmac_f32_e32 v47, 0xbeedf032, v39
	v_add_f32_e32 v48, v48, v55
	v_mov_b32_e32 v55, v38
	v_fmac_f32_e32 v38, 0x3f52af12, v39
	v_add_f32_e32 v37, v37, v43
	v_add_f32_e32 v47, v47, v53
	v_mov_b32_e32 v53, v52
	v_add_f32_e32 v34, v38, v34
	v_sub_f32_e32 v36, v36, v42
	v_mul_f32_e32 v38, 0xbf3f9e67, v37
	v_fmac_f32_e32 v51, 0x3f7e222b, v39
	v_fmac_f32_e32 v53, 0xbe750f2a, v39
	;; [unrolled: 1-line block ×4, first 2 shown]
	v_mov_b32_e32 v39, v38
	v_fmac_f32_e32 v38, 0xbf29c268, v36
	v_fmac_f32_e32 v39, 0x3f29c268, v36
	v_add_f32_e32 v38, v38, v40
	v_mul_f32_e32 v40, 0x3df6dbef, v37
	v_add_f32_e32 v39, v39, v41
	v_mov_b32_e32 v41, v40
	v_fmac_f32_e32 v40, 0x3f7e222b, v36
	v_mul_f32_e32 v42, 0x3f116cb1, v37
	v_fmac_f32_e32 v41, 0xbf7e222b, v36
	v_add_f32_e32 v40, v40, v44
	v_mov_b32_e32 v43, v42
	v_fmac_f32_e32 v42, 0xbf52af12, v36
	v_mul_f32_e32 v44, 0xbf788fa5, v37
	v_add_f32_e32 v41, v41, v45
	v_fmac_f32_e32 v43, 0x3f52af12, v36
	v_add_f32_e32 v42, v42, v46
	v_mov_b32_e32 v45, v44
	v_fmac_f32_e32 v44, 0x3e750f2a, v36
	v_mul_f32_e32 v46, 0x3f62ad3f, v37
	v_mul_f32_e32 v37, 0xbeb58ec6, v37
	v_add_f32_e32 v31, v31, v33
	v_add_f32_e32 v43, v43, v47
	;; [unrolled: 1-line block ×3, first 2 shown]
	v_mov_b32_e32 v47, v46
	v_mov_b32_e32 v48, v37
	v_sub_f32_e32 v30, v30, v32
	v_mul_f32_e32 v32, 0xbf788fa5, v31
	v_fmac_f32_e32 v45, 0xbe750f2a, v36
	v_fmac_f32_e32 v47, 0xbeedf032, v36
	;; [unrolled: 1-line block ×5, first 2 shown]
	v_mov_b32_e32 v33, v32
	v_fmac_f32_e32 v32, 0xbe750f2a, v30
	v_mul_f32_e32 v36, 0x3f62ad3f, v31
	v_add_f32_e32 v34, v37, v34
	v_fmac_f32_e32 v33, 0x3e750f2a, v30
	v_add_f32_e32 v32, v32, v38
	v_mov_b32_e32 v37, v36
	v_fmac_f32_e32 v36, 0x3eedf032, v30
	v_mul_f32_e32 v38, 0xbf3f9e67, v31
	v_mul_lo_u32 v35, v35, 52
	v_add_f32_e32 v33, v33, v39
	v_fmac_f32_e32 v37, 0xbeedf032, v30
	v_add_f32_e32 v36, v36, v40
	v_mov_b32_e32 v39, v38
	v_fmac_f32_e32 v38, 0xbf29c268, v30
	v_mul_f32_e32 v40, 0x3f116cb1, v31
	v_add_f32_e32 v77, v77, v81
	v_add_f32_e32 v79, v79, v83
	;; [unrolled: 1-line block ×5, first 2 shown]
	v_fmac_f32_e32 v39, 0x3f29c268, v30
	v_add_f32_e32 v38, v38, v42
	v_mov_b32_e32 v41, v40
	v_fmac_f32_e32 v40, 0x3f52af12, v30
	v_mul_f32_e32 v42, 0xbeb58ec6, v31
	v_mul_f32_e32 v31, 0x3df6dbef, v31
	v_add_f32_e32 v57, v57, v77
	v_add_f32_e32 v75, v75, v79
	;; [unrolled: 1-line block ×6, first 2 shown]
	v_mov_b32_e32 v43, v42
	v_mov_b32_e32 v44, v31
	v_fmac_f32_e32 v31, 0x3f7e222b, v30
	v_add_f32_e32 v51, v51, v57
	v_add_f32_e32 v53, v53, v75
	;; [unrolled: 1-line block ×4, first 2 shown]
	v_fmac_f32_e32 v41, 0xbf52af12, v30
	v_fmac_f32_e32 v43, 0x3f6f5d39, v30
	;; [unrolled: 1-line block ×4, first 2 shown]
	v_add_f32_e32 v30, v31, v34
	v_or_b32_e32 v31, v35, v56
	v_add_f32_e32 v45, v45, v51
	v_add_f32_e32 v47, v47, v53
	;; [unrolled: 1-line block ×4, first 2 shown]
	v_lshl_add_u32 v31, v31, 2, 0
	v_add_f32_e32 v41, v41, v45
	v_add_f32_e32 v43, v43, v47
	;; [unrolled: 1-line block ×4, first 2 shown]
	ds_write2_b32 v31, v74, v33 offset1:4
	ds_write2_b32 v31, v37, v39 offset0:8 offset1:12
	ds_write2_b32 v31, v41, v43 offset0:16 offset1:20
	;; [unrolled: 1-line block ×5, first 2 shown]
	ds_write_b32 v31, v32 offset:192
.LBB0_35:
	s_or_b64 exec, exec, s[2:3]
	v_mul_u32_u24_e32 v30, 6, v64
	v_lshlrev_b32_e32 v42, 3, v30
	s_movk_i32 s0, 0x4f
	s_waitcnt lgkmcnt(0)
	; wave barrier
	s_waitcnt lgkmcnt(0)
	global_load_dwordx4 v[30:33], v42, s[12:13] offset:400
	global_load_dwordx4 v[34:37], v42, s[12:13] offset:416
	;; [unrolled: 1-line block ×3, first 2 shown]
	v_mul_lo_u16_sdwa v42, v65, s0 dst_sel:DWORD dst_unused:UNUSED_PAD src0_sel:BYTE_0 src1_sel:DWORD
	v_lshrrev_b16_e32 v42, 12, v42
	v_mul_lo_u16_e32 v42, 52, v42
	v_sub_u16_e32 v42, v65, v42
	v_and_b32_e32 v48, 0xff, v42
	v_mul_u32_u24_e32 v42, 6, v48
	v_lshlrev_b32_e32 v46, 3, v42
	global_load_dwordx4 v[42:45], v46, s[12:13] offset:400
	global_load_dwordx4 v[74:77], v46, s[12:13] offset:416
	;; [unrolled: 1-line block ×3, first 2 shown]
	ds_read2_b32 v[46:47], v0 offset1:208
	ds_read_b32 v53, v71
	ds_read_b32 v8, v8
	ds_read2_b32 v[51:52], v49 offset0:60 offset1:112
	ds_read2_b32 v[55:56], v54 offset0:12 offset1:64
	;; [unrolled: 1-line block ×3, first 2 shown]
	ds_read_b32 v57, v67
	ds_read2_b32 v[84:85], v50 offset0:4 offset1:108
	ds_read_b32 v59, v68
	ds_read2_b32 v[86:87], v72 offset0:32 offset1:136
	ds_read2_b32 v[88:89], v49 offset0:164 offset1:216
	;; [unrolled: 1-line block ×3, first 2 shown]
	ds_read_b32 v65, v10
	s_mov_b32 s0, 0xbf5ff5aa
	s_mov_b32 s1, 0x3f3bfb3b
	;; [unrolled: 1-line block ×4, first 2 shown]
	s_waitcnt lgkmcnt(0)
	; wave barrier
	s_waitcnt vmcnt(5) lgkmcnt(0)
	v_mul_f32_e32 v90, v59, v31
	v_mul_f32_e32 v92, v53, v33
	s_waitcnt vmcnt(3)
	v_mul_f32_e32 v98, v55, v39
	v_mul_f32_e32 v100, v83, v41
	;; [unrolled: 1-line block ×16, first 2 shown]
	v_fmac_f32_e32 v90, v63, v30
	v_fmac_f32_e32 v92, v62, v32
	;; [unrolled: 1-line block ×4, first 2 shown]
	v_mul_f32_e32 v107, v72, v41
	v_mul_f32_e32 v41, v18, v41
	v_fma_f32 v59, v59, v30, -v91
	v_fma_f32 v53, v53, v32, -v93
	v_fmac_f32_e32 v94, v61, v34
	v_fma_f32 v8, v8, v34, -v95
	v_fmac_f32_e32 v96, v21, v36
	v_fma_f32 v21, v52, v36, -v97
	v_fma_f32 v28, v55, v38, -v99
	;; [unrolled: 1-line block ×3, first 2 shown]
	v_fmac_f32_e32 v102, v15, v30
	v_fma_f32 v15, v47, v30, -v31
	v_fmac_f32_e32 v105, v22, v36
	v_fma_f32 v22, v88, v36, -v37
	;; [unrolled: 2-line block ×3, first 2 shown]
	s_waitcnt vmcnt(2)
	v_mul_f32_e32 v30, v84, v43
	v_mul_f32_e32 v31, v24, v43
	v_add_f32_e32 v36, v90, v100
	v_add_f32_e32 v39, v92, v98
	v_mul_f32_e32 v103, v85, v33
	v_mul_f32_e32 v33, v25, v33
	v_fmac_f32_e32 v107, v18, v40
	v_fma_f32 v18, v72, v40, -v41
	v_fmac_f32_e32 v30, v24, v42
	v_fma_f32 v24, v84, v42, -v31
	v_add_f32_e32 v37, v59, v17
	v_add_f32_e32 v40, v53, v28
	;; [unrolled: 1-line block ×4, first 2 shown]
	v_sub_f32_e32 v8, v21, v8
	v_add_f32_e32 v21, v39, v36
	v_mul_f32_e32 v104, v87, v35
	v_mul_f32_e32 v35, v27, v35
	v_fmac_f32_e32 v103, v25, v32
	v_fma_f32 v25, v85, v32, -v33
	v_mul_f32_e32 v32, v86, v45
	v_mul_f32_e32 v33, v26, v45
	v_add_f32_e32 v45, v40, v37
	v_add_f32_e32 v21, v42, v21
	v_fmac_f32_e32 v104, v27, v34
	v_fma_f32 v27, v87, v34, -v35
	s_waitcnt vmcnt(1)
	v_mul_f32_e32 v34, v51, v75
	v_mul_f32_e32 v35, v20, v75
	v_fmac_f32_e32 v32, v26, v44
	v_fma_f32 v26, v86, v44, -v33
	v_sub_f32_e32 v38, v90, v100
	v_sub_f32_e32 v41, v92, v98
	v_sub_f32_e32 v28, v53, v28
	v_sub_f32_e32 v44, v96, v94
	v_sub_f32_e32 v47, v39, v36
	v_sub_f32_e32 v36, v36, v42
	v_sub_f32_e32 v39, v42, v39
	v_add_f32_e32 v42, v43, v45
	v_add_f32_e32 v14, v14, v21
	v_fmac_f32_e32 v34, v20, v74
	v_fma_f32 v20, v51, v74, -v35
	v_sub_f32_e32 v17, v59, v17
	v_sub_f32_e32 v51, v40, v37
	;; [unrolled: 1-line block ×4, first 2 shown]
	v_add_f32_e32 v52, v44, v41
	v_add_f32_e32 v53, v8, v28
	v_sub_f32_e32 v55, v44, v41
	v_sub_f32_e32 v56, v8, v28
	;; [unrolled: 1-line block ×3, first 2 shown]
	v_add_f32_e32 v43, v46, v42
	v_mov_b32_e32 v59, v14
	v_sub_f32_e32 v44, v38, v44
	v_sub_f32_e32 v8, v17, v8
	;; [unrolled: 1-line block ×3, first 2 shown]
	v_add_f32_e32 v38, v52, v38
	v_add_f32_e32 v17, v53, v17
	v_mul_f32_e32 v36, 0x3f4a47b2, v36
	v_mul_f32_e32 v37, 0x3f4a47b2, v37
	;; [unrolled: 1-line block ×7, first 2 shown]
	v_fmac_f32_e32 v59, 0xbf955555, v21
	v_mov_b32_e32 v21, v43
	v_mul_f32_e32 v56, 0xbf5ff5aa, v28
	v_fmac_f32_e32 v21, 0xbf955555, v42
	v_fma_f32 v42, v47, s1, -v45
	v_fma_f32 v45, v51, s1, -v46
	;; [unrolled: 1-line block ×3, first 2 shown]
	v_fmac_f32_e32 v36, 0x3d64c772, v39
	v_fma_f32 v39, v51, s2, -v37
	v_fmac_f32_e32 v37, 0x3d64c772, v40
	v_fma_f32 v40, v41, s0, -v52
	v_fma_f32 v28, v28, s0, -v53
	v_fmac_f32_e32 v53, 0xbeae86e6, v8
	v_fma_f32 v41, v44, s3, -v55
	v_fmac_f32_e32 v52, 0xbeae86e6, v44
	v_fma_f32 v8, v8, s3, -v56
	v_add_f32_e32 v36, v36, v59
	v_add_f32_e32 v37, v37, v21
	;; [unrolled: 1-line block ×5, first 2 shown]
	v_fmac_f32_e32 v53, 0xbee1c552, v17
	v_fmac_f32_e32 v28, 0xbee1c552, v17
	;; [unrolled: 1-line block ×3, first 2 shown]
	v_add_f32_e32 v45, v46, v59
	v_fmac_f32_e32 v8, 0xbee1c552, v17
	v_add_f32_e32 v17, v53, v36
	v_sub_f32_e32 v46, v21, v41
	v_sub_f32_e32 v47, v42, v28
	v_add_f32_e32 v28, v28, v42
	v_add_f32_e32 v41, v41, v21
	v_sub_f32_e32 v21, v36, v53
	v_add_f32_e32 v36, v102, v107
	v_add_f32_e32 v42, v15, v18
	v_sub_f32_e32 v15, v15, v18
	v_add_f32_e32 v18, v103, v106
	v_add_f32_e32 v39, v8, v45
	v_sub_f32_e32 v8, v45, v8
	v_add_f32_e32 v45, v25, v29
	v_sub_f32_e32 v25, v25, v29
	v_add_f32_e32 v29, v104, v105
	v_add_f32_e32 v53, v27, v22
	v_sub_f32_e32 v22, v22, v27
	v_add_f32_e32 v27, v18, v36
	s_waitcnt vmcnt(0)
	v_mul_f32_e32 v35, v73, v81
	v_fmac_f32_e32 v52, 0xbee1c552, v38
	v_fmac_f32_e32 v40, 0xbee1c552, v38
	v_add_f32_e32 v56, v45, v42
	v_add_f32_e32 v27, v29, v27
	v_fmac_f32_e32 v35, v19, v80
	v_mul_f32_e32 v19, v19, v81
	v_sub_f32_e32 v38, v37, v52
	v_add_f32_e32 v51, v40, v44
	v_sub_f32_e32 v40, v44, v40
	v_add_f32_e32 v37, v52, v37
	v_sub_f32_e32 v44, v102, v107
	v_sub_f32_e32 v52, v103, v106
	;; [unrolled: 1-line block ×9, first 2 shown]
	v_add_f32_e32 v29, v53, v56
	v_add_f32_e32 v53, v60, v27
	v_fma_f32 v19, v73, v80, -v19
	v_add_f32_e32 v62, v55, v52
	v_add_f32_e32 v63, v22, v25
	v_sub_f32_e32 v72, v55, v52
	v_sub_f32_e32 v73, v22, v25
	;; [unrolled: 1-line block ×3, first 2 shown]
	v_add_f32_e32 v56, v57, v29
	v_mov_b32_e32 v74, v53
	v_sub_f32_e32 v55, v44, v55
	v_sub_f32_e32 v22, v15, v22
	;; [unrolled: 1-line block ×3, first 2 shown]
	v_add_f32_e32 v44, v62, v44
	v_add_f32_e32 v15, v63, v15
	v_mul_f32_e32 v36, 0x3f4a47b2, v36
	v_mul_f32_e32 v42, 0x3f4a47b2, v42
	;; [unrolled: 1-line block ×6, first 2 shown]
	v_fmac_f32_e32 v74, 0xbf955555, v27
	v_mov_b32_e32 v27, v56
	v_mul_f32_e32 v31, v89, v77
	v_mul_f32_e32 v33, v82, v79
	;; [unrolled: 1-line block ×4, first 2 shown]
	v_fmac_f32_e32 v27, 0xbf955555, v29
	v_fma_f32 v29, v59, s1, -v57
	v_fma_f32 v59, v59, s2, -v36
	v_fmac_f32_e32 v36, 0x3d64c772, v18
	v_fma_f32 v18, v61, s2, -v42
	v_fmac_f32_e32 v42, 0x3d64c772, v45
	v_fma_f32 v45, v52, s0, -v62
	v_fma_f32 v25, v25, s0, -v63
	v_fmac_f32_e32 v63, 0xbeae86e6, v22
	v_fma_f32 v52, v55, s3, -v72
	v_fmac_f32_e32 v31, v23, v76
	v_mul_f32_e32 v23, v23, v77
	v_fmac_f32_e32 v33, v16, v78
	v_mul_f32_e32 v16, v16, v79
	v_fma_f32 v57, v61, s1, -v60
	v_fma_f32 v22, v22, s3, -v73
	v_add_f32_e32 v36, v36, v74
	v_add_f32_e32 v29, v29, v74
	;; [unrolled: 1-line block ×3, first 2 shown]
	v_fmac_f32_e32 v63, 0xbee1c552, v15
	v_fmac_f32_e32 v25, 0xbee1c552, v15
	;; [unrolled: 1-line block ×3, first 2 shown]
	v_fma_f32 v23, v89, v76, -v23
	v_fma_f32 v16, v82, v78, -v16
	v_fmac_f32_e32 v62, 0xbeae86e6, v55
	v_add_f32_e32 v55, v57, v27
	v_add_f32_e32 v57, v59, v74
	v_fmac_f32_e32 v22, 0xbee1c552, v15
	v_add_f32_e32 v15, v63, v36
	v_sub_f32_e32 v59, v18, v52
	v_sub_f32_e32 v60, v29, v25
	v_add_f32_e32 v25, v25, v29
	v_add_f32_e32 v52, v52, v18
	v_sub_f32_e32 v18, v36, v63
	v_add_f32_e32 v29, v30, v35
	v_add_f32_e32 v36, v24, v19
	v_sub_f32_e32 v19, v24, v19
	v_add_f32_e32 v24, v32, v33
	v_sub_f32_e32 v30, v30, v35
	;; [unrolled: 2-line block ×3, first 2 shown]
	v_sub_f32_e32 v16, v26, v16
	v_add_f32_e32 v26, v34, v31
	v_add_f32_e32 v33, v20, v23
	v_sub_f32_e32 v20, v23, v20
	v_add_f32_e32 v23, v24, v29
	v_fmac_f32_e32 v45, 0xbee1c552, v44
	v_sub_f32_e32 v31, v31, v34
	v_add_f32_e32 v34, v35, v36
	v_add_f32_e32 v23, v26, v23
	;; [unrolled: 1-line block ×3, first 2 shown]
	v_fmac_f32_e32 v62, 0xbee1c552, v44
	v_add_f32_e32 v27, v22, v57
	v_add_f32_e32 v61, v45, v55
	v_sub_f32_e32 v45, v55, v45
	v_sub_f32_e32 v22, v57, v22
	;; [unrolled: 1-line block ×8, first 2 shown]
	v_add_f32_e32 v26, v33, v34
	v_add_f32_e32 v33, v58, v23
	v_sub_f32_e32 v44, v42, v62
	v_add_f32_e32 v42, v62, v42
	v_add_f32_e32 v62, v31, v32
	;; [unrolled: 1-line block ×3, first 2 shown]
	v_sub_f32_e32 v73, v20, v16
	v_sub_f32_e32 v16, v16, v19
	v_add_f32_e32 v58, v65, v26
	v_mov_b32_e32 v74, v33
	v_sub_f32_e32 v72, v31, v32
	v_sub_f32_e32 v31, v30, v31
	;; [unrolled: 1-line block ×4, first 2 shown]
	v_add_f32_e32 v30, v62, v30
	v_mul_f32_e32 v29, 0x3f4a47b2, v29
	v_mul_f32_e32 v34, 0x3f4a47b2, v36
	;; [unrolled: 1-line block ×6, first 2 shown]
	v_fmac_f32_e32 v74, 0xbf955555, v23
	v_mov_b32_e32 v23, v58
	v_add_f32_e32 v19, v63, v19
	v_mul_f32_e32 v63, 0x3f08b237, v72
	v_mul_f32_e32 v72, 0xbf5ff5aa, v32
	v_fmac_f32_e32 v23, 0xbf955555, v26
	v_fma_f32 v26, v55, s1, -v36
	v_fma_f32 v36, v57, s1, -v62
	;; [unrolled: 1-line block ×3, first 2 shown]
	v_fmac_f32_e32 v29, 0x3d64c772, v24
	v_fma_f32 v16, v16, s0, -v65
	v_fmac_f32_e32 v65, 0xbeae86e6, v20
	v_fma_f32 v20, v20, s3, -v73
	ds_write2_b32 v0, v14, v17 offset1:52
	ds_write2_b32 v0, v39, v47 offset0:104 offset1:156
	v_add_u32_e32 v14, 0x200, v0
	v_fma_f32 v24, v57, s2, -v34
	v_fmac_f32_e32 v34, 0x3d64c772, v35
	v_fma_f32 v32, v32, s0, -v63
	v_fmac_f32_e32 v63, 0xbeae86e6, v31
	v_fma_f32 v31, v31, s3, -v72
	v_add_f32_e32 v29, v29, v74
	v_add_f32_e32 v26, v26, v74
	;; [unrolled: 1-line block ×4, first 2 shown]
	v_fmac_f32_e32 v65, 0xbee1c552, v19
	v_fmac_f32_e32 v16, 0xbee1c552, v19
	;; [unrolled: 1-line block ×3, first 2 shown]
	ds_write2_b32 v14, v28, v8 offset0:80 offset1:132
	ds_write2_b32 v50, v21, v53 offset0:56 offset1:108
	;; [unrolled: 1-line block ×5, first 2 shown]
	v_lshl_add_u32 v8, v48, 2, 0
	v_add_f32_e32 v34, v34, v23
	v_add_f32_e32 v23, v24, v23
	v_fmac_f32_e32 v63, 0xbee1c552, v30
	v_fmac_f32_e32 v32, 0xbee1c552, v30
	;; [unrolled: 1-line block ×3, first 2 shown]
	v_add_f32_e32 v19, v65, v29
	v_add_f32_e32 v24, v20, v36
	v_sub_f32_e32 v30, v26, v16
	v_add_u32_e32 v39, 0xa00, v8
	v_add_u32_e32 v47, 0xc00, v8
	v_sub_f32_e32 v57, v23, v31
	v_add_f32_e32 v16, v16, v26
	v_sub_f32_e32 v20, v36, v20
	v_add_f32_e32 v73, v31, v23
	v_sub_f32_e32 v23, v29, v65
	ds_write2_b32 v39, v33, v19 offset0:88 offset1:140
	ds_write2_b32 v47, v24, v30 offset0:64 offset1:116
	;; [unrolled: 1-line block ×3, first 2 shown]
	ds_write_b32 v8, v23 offset:4160
	v_add_u32_e32 v30, 0xa00, v0
	v_sub_f32_e32 v55, v34, v63
	v_add_f32_e32 v62, v32, v35
	v_sub_f32_e32 v72, v35, v32
	v_add_f32_e32 v63, v63, v34
	s_waitcnt lgkmcnt(0)
	; wave barrier
	s_waitcnt lgkmcnt(0)
	ds_read_b32 v27, v0
	ds_read_b32 v28, v66
	ds_read2_b32 v[17:18], v30 offset0:88 offset1:140
	ds_read2_b32 v[19:20], v50 offset0:160 offset1:212
	;; [unrolled: 1-line block ×6, first 2 shown]
	ds_read_b32 v31, v10
	ds_read_b32 v32, v68
	;; [unrolled: 1-line block ×6, first 2 shown]
	ds_read_b32 v36, v0 offset:4160
	s_waitcnt lgkmcnt(0)
	; wave barrier
	s_waitcnt lgkmcnt(0)
	ds_write2_b32 v0, v43, v38 offset1:52
	ds_write2_b32 v0, v46, v51 offset0:104 offset1:156
	ds_write2_b32 v14, v40, v41 offset0:80 offset1:132
	;; [unrolled: 1-line block ×9, first 2 shown]
	ds_write_b32 v8, v63 offset:4160
	s_waitcnt lgkmcnt(0)
	; wave barrier
	s_waitcnt lgkmcnt(0)
	s_and_saveexec_b64 s[0:1], vcc
	s_cbranch_execz .LBB0_37
; %bb.36:
	v_mov_b32_e32 v8, 0
	v_lshlrev_b64 v[37:38], 3, v[7:8]
	v_mov_b32_e32 v14, v8
	v_mov_b32_e32 v61, s13
	v_add_co_u32_e32 v37, vcc, s12, v37
	v_lshlrev_b64 v[13:14], 3, v[13:14]
	v_addc_co_u32_e32 v38, vcc, v61, v38, vcc
	global_load_dwordx4 v[37:40], v[37:38], off offset:2896
	v_add_co_u32_e32 v13, vcc, s12, v13
	v_addc_co_u32_e32 v14, vcc, v61, v14, vcc
	global_load_dwordx4 v[41:44], v[13:14], off offset:2896
	v_mov_b32_e32 v13, v8
	v_lshlrev_b64 v[12:13], 3, v[12:13]
	v_mul_lo_u32 v7, s5, v3
	v_add_co_u32_e32 v12, vcc, s12, v12
	v_addc_co_u32_e32 v13, vcc, v61, v13, vcc
	global_load_dwordx4 v[45:48], v[12:13], off offset:2896
	v_mov_b32_e32 v12, v8
	v_lshlrev_b64 v[11:12], 3, v[11:12]
	v_mul_lo_u32 v13, s4, v4
	v_mad_u64_u32 v[57:58], s[0:1], s4, v3, 0
	v_add_u32_e32 v62, 0x800, v0
	v_add_u32_e32 v63, 0xc00, v0
	ds_read_b32 v14, v71
	ds_read_b32 v65, v70
	;; [unrolled: 1-line block ×6, first 2 shown]
	ds_read_b32 v71, v0 offset:4160
	ds_read_b32 v72, v0
	ds_read2_b32 v[3:4], v62 offset0:112 offset1:164
	ds_read2_b32 v[59:60], v63 offset0:168 offset1:220
	v_mov_b32_e32 v10, v8
	v_lshlrev_b64 v[9:10], 3, v[9:10]
	v_add_co_u32_e32 v11, vcc, s12, v11
	v_addc_co_u32_e32 v12, vcc, v61, v12, vcc
	v_add_co_u32_e32 v9, vcc, s12, v9
	v_addc_co_u32_e32 v10, vcc, v61, v10, vcc
	v_add3_u32 v58, v58, v13, v7
	global_load_dwordx4 v[49:52], v[11:12], off offset:2896
	global_load_dwordx4 v[53:56], v[9:10], off offset:2896
	v_add_u32_e32 v0, 0x400, v0
	s_mov_b32 s0, 0x5a05a05b
	s_movk_i32 s1, 0x444
	s_waitcnt vmcnt(4)
	v_mul_f32_e32 v7, v16, v38
	v_mul_f32_e32 v9, v36, v40
	s_waitcnt lgkmcnt(1)
	v_mul_f32_e32 v10, v4, v38
	v_mul_f32_e32 v11, v71, v40
	v_fma_f32 v4, v37, v4, -v7
	v_fma_f32 v7, v39, v71, -v9
	v_fmac_f32_e32 v10, v16, v37
	v_fmac_f32_e32 v11, v36, v39
	s_waitcnt vmcnt(3)
	v_mul_f32_e32 v9, v15, v42
	v_mul_f32_e32 v36, v3, v42
	s_waitcnt lgkmcnt(0)
	v_mul_f32_e32 v37, v60, v44
	v_add_f32_e32 v13, v4, v7
	v_add_f32_e32 v16, v10, v11
	v_mul_f32_e32 v12, v26, v44
	v_sub_f32_e32 v38, v10, v11
	v_sub_f32_e32 v39, v4, v7
	v_add_f32_e32 v4, v14, v4
	v_add_f32_e32 v40, v35, v10
	v_fma_f32 v42, v41, v3, -v9
	v_fmac_f32_e32 v36, v15, v41
	v_fmac_f32_e32 v37, v26, v43
	v_fma_f32 v10, -0.5, v13, v14
	v_fma_f32 v9, -0.5, v16, v35
	v_fma_f32 v44, v43, v60, -v12
	v_add_f32_e32 v12, v4, v7
	v_add_f32_e32 v13, v36, v37
	v_mov_b32_e32 v4, v10
	v_mov_b32_e32 v3, v9
	v_add_f32_e32 v7, v42, v44
	v_fmac_f32_e32 v10, 0x3f5db3d7, v38
	v_fmac_f32_e32 v9, 0xbf5db3d7, v39
	;; [unrolled: 1-line block ×4, first 2 shown]
	v_fma_f32 v15, -0.5, v13, v34
	ds_read2_b32 v[38:39], v62 offset0:8 offset1:60
	v_fma_f32 v16, -0.5, v7, v65
	v_sub_f32_e32 v7, v42, v44
	v_mov_b32_e32 v13, v15
	v_fmac_f32_e32 v13, 0x3f5db3d7, v7
	v_fmac_f32_e32 v15, 0xbf5db3d7, v7
	v_add_f32_e32 v7, v65, v42
	v_add_f32_e32 v41, v7, v44
	;; [unrolled: 1-line block ×5, first 2 shown]
	s_waitcnt vmcnt(2)
	v_mul_f32_e32 v7, v24, v46
	s_waitcnt lgkmcnt(0)
	v_fma_f32 v44, v45, v39, -v7
	v_mul_f32_e32 v7, v25, v48
	v_fma_f32 v60, v47, v59, -v7
	v_mov_b32_e32 v7, v8
	v_lshlrev_b64 v[6:7], 3, v[6:7]
	v_mul_f32_e32 v39, v39, v46
	v_add_co_u32_e32 v6, vcc, s12, v6
	v_addc_co_u32_e32 v7, vcc, v61, v7, vcc
	v_sub_f32_e32 v26, v36, v37
	v_mov_b32_e32 v14, v16
	global_load_dwordx4 v[34:37], v[6:7], off offset:2896
	v_add_f32_e32 v6, v44, v60
	v_fmac_f32_e32 v39, v24, v45
	v_mul_f32_e32 v24, v59, v48
	v_fmac_f32_e32 v14, 0xbf5db3d7, v26
	v_fmac_f32_e32 v16, 0x3f5db3d7, v26
	v_fma_f32 v26, -0.5, v6, v69
	v_fmac_f32_e32 v24, v25, v47
	v_sub_f32_e32 v6, v39, v24
	v_mov_b32_e32 v43, v26
	v_fmac_f32_e32 v43, 0xbf5db3d7, v6
	v_fmac_f32_e32 v26, 0x3f5db3d7, v6
	v_add_f32_e32 v6, v69, v44
	v_add_f32_e32 v45, v6, v60
	v_mov_b32_e32 v6, v8
	v_lshlrev_b64 v[5:6], 3, v[5:6]
	v_add_f32_e32 v7, v39, v24
	v_fma_f32 v25, -0.5, v7, v33
	v_add_co_u32_e32 v5, vcc, s12, v5
	v_sub_f32_e32 v7, v44, v60
	v_mov_b32_e32 v42, v25
	v_addc_co_u32_e32 v6, vcc, v61, v6, vcc
	v_fmac_f32_e32 v42, 0x3f5db3d7, v7
	v_fmac_f32_e32 v25, 0xbf5db3d7, v7
	global_load_dwordx4 v[5:8], v[5:6], off offset:2896
	ds_read2_b32 v[46:47], v63 offset0:64 offset1:116
	v_add_f32_e32 v33, v33, v39
	v_add_f32_e32 v44, v33, v24
	s_waitcnt vmcnt(3)
	v_mul_f32_e32 v24, v23, v50
	v_mul_f32_e32 v50, v38, v50
	v_fma_f32 v33, v49, v38, -v24
	v_fmac_f32_e32 v50, v23, v49
	s_waitcnt lgkmcnt(0)
	v_mul_f32_e32 v49, v47, v52
	v_fmac_f32_e32 v49, v22, v51
	v_mul_f32_e32 v24, v22, v52
	v_add_f32_e32 v23, v50, v49
	v_fma_f32 v59, v51, v47, -v24
	v_fma_f32 v23, -0.5, v23, v32
	v_sub_f32_e32 v47, v33, v59
	v_mov_b32_e32 v38, v23
	v_fmac_f32_e32 v38, 0x3f5db3d7, v47
	v_fmac_f32_e32 v23, 0xbf5db3d7, v47
	ds_read2_b32 v[47:48], v0 offset0:160 offset1:212
	v_add_f32_e32 v24, v33, v59
	v_fma_f32 v24, -0.5, v24, v68
	v_add_f32_e32 v0, v32, v50
	v_sub_f32_e32 v22, v50, v49
	s_waitcnt vmcnt(2) lgkmcnt(0)
	v_mul_f32_e32 v52, v48, v54
	v_mov_b32_e32 v39, v24
	v_add_f32_e32 v32, v0, v49
	v_mul_f32_e32 v0, v20, v54
	v_fmac_f32_e32 v52, v20, v53
	v_mul_f32_e32 v20, v46, v56
	v_fmac_f32_e32 v39, 0xbf5db3d7, v22
	v_fmac_f32_e32 v24, 0x3f5db3d7, v22
	v_add_f32_e32 v22, v68, v33
	v_fmac_f32_e32 v20, v21, v55
	v_add_f32_e32 v33, v22, v59
	v_mul_f32_e32 v22, v21, v56
	v_add_f32_e32 v21, v52, v20
	v_fma_f32 v0, v53, v48, -v0
	v_fma_f32 v50, v55, v46, -v22
	v_fma_f32 v21, -0.5, v21, v31
	v_add_f32_e32 v22, v0, v50
	v_sub_f32_e32 v51, v0, v50
	v_mov_b32_e32 v48, v21
	v_add_f32_e32 v0, v70, v0
	v_fmac_f32_e32 v48, 0x3f5db3d7, v51
	v_fmac_f32_e32 v21, 0xbf5db3d7, v51
	v_add_f32_e32 v51, v0, v50
	v_add_f32_e32 v0, v31, v52
	ds_read2_b32 v[30:31], v30 offset0:88 offset1:140
	v_fma_f32 v22, -0.5, v22, v70
	v_sub_f32_e32 v46, v52, v20
	v_mov_b32_e32 v49, v22
	v_add_f32_e32 v50, v0, v20
	ds_read_b32 v52, v66
	v_fmac_f32_e32 v49, 0xbf5db3d7, v46
	s_waitcnt vmcnt(1)
	v_mul_f32_e32 v0, v19, v35
	v_mul_f32_e32 v20, v18, v37
	v_fmac_f32_e32 v22, 0x3f5db3d7, v46
	v_fma_f32 v0, v34, v47, -v0
	s_waitcnt lgkmcnt(1)
	v_fma_f32 v46, v36, v31, -v20
	v_mul_f32_e32 v47, v47, v35
	v_mul_f32_e32 v31, v31, v37
	v_fmac_f32_e32 v47, v19, v34
	v_fmac_f32_e32 v31, v18, v36
	v_add_f32_e32 v19, v47, v31
	v_add_f32_e32 v20, v0, v46
	v_fma_f32 v19, -0.5, v19, v29
	v_sub_f32_e32 v36, v0, v46
	v_add_f32_e32 v0, v67, v0
	v_sub_f32_e32 v18, v47, v31
	v_mov_b32_e32 v34, v19
	v_add_f32_e32 v37, v0, v46
	v_add_f32_e32 v0, v29, v47
	v_fma_f32 v20, -0.5, v20, v67
	v_fmac_f32_e32 v34, 0x3f5db3d7, v36
	v_fmac_f32_e32 v19, 0xbf5db3d7, v36
	v_add_f32_e32 v36, v0, v31
	v_mov_b32_e32 v35, v20
	v_fmac_f32_e32 v35, 0xbf5db3d7, v18
	v_fmac_f32_e32 v20, 0x3f5db3d7, v18
	s_waitcnt vmcnt(0) lgkmcnt(0)
	v_mul_f32_e32 v46, v52, v6
	v_mul_f32_e32 v47, v30, v8
	v_mul_f32_e32 v0, v28, v6
	v_fmac_f32_e32 v46, v28, v5
	v_fmac_f32_e32 v47, v17, v7
	v_fma_f32 v0, v5, v52, -v0
	v_add_f32_e32 v5, v46, v47
	v_mul_f32_e32 v18, v17, v8
	v_fma_f32 v17, -0.5, v5, v27
	v_lshrrev_b32_e32 v5, 2, v64
	v_fma_f32 v31, v7, v30, -v18
	v_mul_hi_u32 v7, v5, s0
	v_add_f32_e32 v18, v0, v31
	v_fma_f32 v18, -0.5, v18, v72
	v_sub_f32_e32 v28, v46, v47
	v_lshrrev_b32_e32 v7, 5, v7
	v_mul_u32_u24_e32 v7, 0x16c, v7
	v_sub_u32_e32 v52, v64, v7
	v_mad_u64_u32 v[7:8], s[2:3], s20, v52, 0
	v_mov_b32_e32 v6, v18
	v_sub_f32_e32 v29, v0, v31
	v_mov_b32_e32 v5, v17
	v_add_f32_e32 v30, v72, v0
	v_mov_b32_e32 v0, v8
	v_fmac_f32_e32 v6, 0xbf5db3d7, v28
	v_fmac_f32_e32 v5, 0x3f5db3d7, v29
	;; [unrolled: 1-line block ×4, first 2 shown]
	v_mad_u64_u32 v[28:29], s[2:3], s21, v52, v[0:1]
	v_add_f32_e32 v0, v27, v46
	v_add_f32_e32 v30, v30, v31
	v_mov_b32_e32 v8, v28
	v_lshlrev_b64 v[27:28], 3, v[57:58]
	v_add_f32_e32 v29, v0, v47
	v_mov_b32_e32 v0, s11
	v_add_co_u32_e32 v31, vcc, s10, v27
	v_add_u32_e32 v47, 0x16c, v52
	v_addc_co_u32_e32 v46, vcc, v0, v28, vcc
	v_mad_u64_u32 v[27:28], s[2:3], s20, v47, 0
	v_lshlrev_b64 v[0:1], 3, v[1:2]
	v_add_co_u32_e32 v31, vcc, v31, v0
	v_mov_b32_e32 v2, v28
	v_addc_co_u32_e32 v46, vcc, v46, v1, vcc
	v_lshlrev_b64 v[0:1], 3, v[7:8]
	v_mad_u64_u32 v[7:8], s[2:3], s21, v47, v[2:3]
	v_add_co_u32_e32 v0, vcc, v31, v0
	v_addc_co_u32_e32 v1, vcc, v46, v1, vcc
	v_mov_b32_e32 v28, v7
	global_store_dwordx2 v[0:1], v[29:30], off
	v_lshlrev_b64 v[0:1], 3, v[27:28]
	v_add_u32_e32 v27, 0x2d8, v52
	v_mad_u64_u32 v[7:8], s[2:3], s20, v27, 0
	v_add_co_u32_e32 v0, vcc, v31, v0
	v_mov_b32_e32 v2, v8
	v_mad_u64_u32 v[27:28], s[2:3], s21, v27, v[2:3]
	v_add_u32_e32 v2, 52, v64
	v_lshrrev_b32_e32 v8, 2, v2
	v_mul_hi_u32 v28, v8, s0
	v_addc_co_u32_e32 v1, vcc, v46, v1, vcc
	v_mov_b32_e32 v8, v27
	global_store_dwordx2 v[0:1], v[17:18], off
	v_lshlrev_b64 v[0:1], 3, v[7:8]
	v_lshrrev_b32_e32 v7, 5, v28
	v_mul_u32_u24_e32 v8, 0x16c, v7
	v_sub_u32_e32 v2, v2, v8
	v_mad_u32_u24 v29, v7, s1, v2
	v_mad_u64_u32 v[7:8], s[2:3], s20, v29, 0
	v_add_co_u32_e32 v0, vcc, v31, v0
	v_mov_b32_e32 v2, v8
	v_mad_u64_u32 v[17:18], s[2:3], s21, v29, v[2:3]
	v_add_u32_e32 v18, 0x16c, v29
	v_mad_u64_u32 v[27:28], s[2:3], s20, v18, 0
	v_addc_co_u32_e32 v1, vcc, v46, v1, vcc
	v_mov_b32_e32 v2, v28
	global_store_dwordx2 v[0:1], v[5:6], off
	v_mad_u64_u32 v[5:6], s[2:3], s21, v18, v[2:3]
	v_mov_b32_e32 v8, v17
	v_lshlrev_b64 v[0:1], 3, v[7:8]
	v_add_u32_e32 v7, 0x2d8, v29
	v_mov_b32_e32 v28, v5
	v_mad_u64_u32 v[5:6], s[2:3], s20, v7, 0
	v_add_co_u32_e32 v0, vcc, v31, v0
	v_mov_b32_e32 v2, v6
	v_mad_u64_u32 v[6:7], s[2:3], s21, v7, v[2:3]
	v_add_u32_e32 v2, 0x68, v64
	v_addc_co_u32_e32 v1, vcc, v46, v1, vcc
	v_lshrrev_b32_e32 v7, 2, v2
	global_store_dwordx2 v[0:1], v[36:37], off
	v_lshlrev_b64 v[0:1], 3, v[27:28]
	v_mul_hi_u32 v7, v7, s0
	v_add_co_u32_e32 v0, vcc, v31, v0
	v_addc_co_u32_e32 v1, vcc, v46, v1, vcc
	global_store_dwordx2 v[0:1], v[19:20], off
	v_lshlrev_b64 v[0:1], 3, v[5:6]
	v_lshrrev_b32_e32 v5, 5, v7
	v_mul_u32_u24_e32 v6, 0x16c, v5
	v_sub_u32_e32 v2, v2, v6
	v_mad_u32_u24 v17, v5, s1, v2
	v_mad_u64_u32 v[5:6], s[2:3], s20, v17, 0
	v_add_u32_e32 v18, 0x16c, v17
	v_add_co_u32_e32 v0, vcc, v31, v0
	v_mov_b32_e32 v2, v6
	v_mad_u64_u32 v[6:7], s[2:3], s21, v17, v[2:3]
	v_mad_u64_u32 v[7:8], s[2:3], s20, v18, 0
	v_addc_co_u32_e32 v1, vcc, v46, v1, vcc
	v_mov_b32_e32 v2, v8
	global_store_dwordx2 v[0:1], v[34:35], off
	v_lshlrev_b64 v[0:1], 3, v[5:6]
	v_mad_u64_u32 v[5:6], s[2:3], s21, v18, v[2:3]
	v_add_co_u32_e32 v0, vcc, v31, v0
	v_addc_co_u32_e32 v1, vcc, v46, v1, vcc
	v_mov_b32_e32 v8, v5
	global_store_dwordx2 v[0:1], v[50:51], off
	v_lshlrev_b64 v[0:1], 3, v[7:8]
	v_add_u32_e32 v7, 0x2d8, v17
	v_mad_u64_u32 v[5:6], s[2:3], s20, v7, 0
	v_add_co_u32_e32 v0, vcc, v31, v0
	v_mov_b32_e32 v2, v6
	v_mad_u64_u32 v[6:7], s[2:3], s21, v7, v[2:3]
	v_add_u32_e32 v2, 0x9c, v64
	v_lshrrev_b32_e32 v7, 2, v2
	v_mul_hi_u32 v7, v7, s0
	v_addc_co_u32_e32 v1, vcc, v46, v1, vcc
	global_store_dwordx2 v[0:1], v[21:22], off
	v_lshlrev_b64 v[0:1], 3, v[5:6]
	v_lshrrev_b32_e32 v5, 5, v7
	v_mul_u32_u24_e32 v6, 0x16c, v5
	v_sub_u32_e32 v2, v2, v6
	v_mad_u32_u24 v17, v5, s1, v2
	v_mad_u64_u32 v[5:6], s[2:3], s20, v17, 0
	v_add_u32_e32 v18, 0x16c, v17
	v_add_co_u32_e32 v0, vcc, v31, v0
	v_mov_b32_e32 v2, v6
	v_mad_u64_u32 v[6:7], s[2:3], s21, v17, v[2:3]
	v_mad_u64_u32 v[7:8], s[2:3], s20, v18, 0
	v_addc_co_u32_e32 v1, vcc, v46, v1, vcc
	v_mov_b32_e32 v2, v8
	global_store_dwordx2 v[0:1], v[48:49], off
	v_lshlrev_b64 v[0:1], 3, v[5:6]
	v_mad_u64_u32 v[5:6], s[2:3], s21, v18, v[2:3]
	v_add_co_u32_e32 v0, vcc, v31, v0
	v_addc_co_u32_e32 v1, vcc, v46, v1, vcc
	v_mov_b32_e32 v8, v5
	global_store_dwordx2 v[0:1], v[32:33], off
	v_lshlrev_b64 v[0:1], 3, v[7:8]
	v_add_u32_e32 v7, 0x2d8, v17
	v_mad_u64_u32 v[5:6], s[2:3], s20, v7, 0
	v_add_co_u32_e32 v0, vcc, v31, v0
	v_mov_b32_e32 v2, v6
	v_mad_u64_u32 v[6:7], s[2:3], s21, v7, v[2:3]
	v_add_u32_e32 v2, 0xd0, v64
	v_lshrrev_b32_e32 v7, 2, v2
	v_mul_hi_u32 v7, v7, s0
	;; [unrolled: 31-line block ×3, first 2 shown]
	v_addc_co_u32_e32 v1, vcc, v46, v1, vcc
	global_store_dwordx2 v[0:1], v[25:26], off
	v_lshlrev_b64 v[0:1], 3, v[5:6]
	v_lshrrev_b32_e32 v5, 5, v7
	v_mul_u32_u24_e32 v6, 0x16c, v5
	v_sub_u32_e32 v2, v2, v6
	v_mad_u32_u24 v17, v5, s1, v2
	v_mad_u64_u32 v[5:6], s[2:3], s20, v17, 0
	v_add_u32_e32 v18, 0x16c, v17
	v_add_co_u32_e32 v0, vcc, v31, v0
	v_mov_b32_e32 v2, v6
	v_mad_u64_u32 v[6:7], s[2:3], s21, v17, v[2:3]
	v_mad_u64_u32 v[7:8], s[2:3], s20, v18, 0
	v_addc_co_u32_e32 v1, vcc, v46, v1, vcc
	v_mov_b32_e32 v2, v8
	global_store_dwordx2 v[0:1], v[42:43], off
	v_lshlrev_b64 v[0:1], 3, v[5:6]
	v_mad_u64_u32 v[5:6], s[2:3], s21, v18, v[2:3]
	v_add_co_u32_e32 v0, vcc, v31, v0
	v_addc_co_u32_e32 v1, vcc, v46, v1, vcc
	v_mov_b32_e32 v8, v5
	global_store_dwordx2 v[0:1], v[40:41], off
	v_lshlrev_b64 v[0:1], 3, v[7:8]
	v_add_u32_e32 v7, 0x2d8, v17
	v_add_u32_e32 v8, 0x138, v64
	v_mad_u64_u32 v[5:6], s[2:3], s20, v7, 0
	v_lshrrev_b32_e32 v2, 2, v8
	v_mul_hi_u32 v17, v2, s0
	v_mov_b32_e32 v2, v6
	v_mad_u64_u32 v[6:7], s[2:3], s21, v7, v[2:3]
	v_lshrrev_b32_e32 v2, 5, v17
	v_mul_u32_u24_e32 v7, 0x16c, v2
	v_sub_u32_e32 v7, v8, v7
	v_mad_u32_u24 v17, v2, s1, v7
	v_mad_u64_u32 v[7:8], s[0:1], s20, v17, 0
	v_add_co_u32_e32 v0, vcc, v31, v0
	v_addc_co_u32_e32 v1, vcc, v46, v1, vcc
	v_mov_b32_e32 v2, v8
	global_store_dwordx2 v[0:1], v[15:16], off
	v_lshlrev_b64 v[0:1], 3, v[5:6]
	v_mad_u64_u32 v[5:6], s[0:1], s21, v17, v[2:3]
	v_add_co_u32_e32 v0, vcc, v31, v0
	v_addc_co_u32_e32 v1, vcc, v46, v1, vcc
	v_mov_b32_e32 v8, v5
	global_store_dwordx2 v[0:1], v[13:14], off
	v_lshlrev_b64 v[0:1], 3, v[7:8]
	v_add_u32_e32 v7, 0x16c, v17
	v_mad_u64_u32 v[5:6], s[0:1], s20, v7, 0
	v_add_u32_e32 v13, 0x2d8, v17
	v_add_co_u32_e32 v0, vcc, v31, v0
	v_mov_b32_e32 v2, v6
	v_mad_u64_u32 v[6:7], s[0:1], s21, v7, v[2:3]
	v_mad_u64_u32 v[7:8], s[0:1], s20, v13, 0
	v_addc_co_u32_e32 v1, vcc, v46, v1, vcc
	v_mov_b32_e32 v2, v8
	global_store_dwordx2 v[0:1], v[11:12], off
	v_lshlrev_b64 v[0:1], 3, v[5:6]
	v_mad_u64_u32 v[5:6], s[0:1], s21, v13, v[2:3]
	v_add_co_u32_e32 v0, vcc, v31, v0
	v_addc_co_u32_e32 v1, vcc, v46, v1, vcc
	v_mov_b32_e32 v8, v5
	global_store_dwordx2 v[0:1], v[9:10], off
	v_lshlrev_b64 v[0:1], 3, v[7:8]
	v_add_co_u32_e32 v0, vcc, v31, v0
	v_addc_co_u32_e32 v1, vcc, v46, v1, vcc
	global_store_dwordx2 v[0:1], v[3:4], off
.LBB0_37:
	s_endpgm
	.section	.rodata,"a",@progbits
	.p2align	6, 0x0
	.amdhsa_kernel fft_rtc_back_len1092_factors_2_2_13_7_3_wgs_52_tpt_52_halfLds_sp_op_CI_CI_sbrr_dirReg
		.amdhsa_group_segment_fixed_size 0
		.amdhsa_private_segment_fixed_size 0
		.amdhsa_kernarg_size 104
		.amdhsa_user_sgpr_count 6
		.amdhsa_user_sgpr_private_segment_buffer 1
		.amdhsa_user_sgpr_dispatch_ptr 0
		.amdhsa_user_sgpr_queue_ptr 0
		.amdhsa_user_sgpr_kernarg_segment_ptr 1
		.amdhsa_user_sgpr_dispatch_id 0
		.amdhsa_user_sgpr_flat_scratch_init 0
		.amdhsa_user_sgpr_private_segment_size 0
		.amdhsa_uses_dynamic_stack 0
		.amdhsa_system_sgpr_private_segment_wavefront_offset 0
		.amdhsa_system_sgpr_workgroup_id_x 1
		.amdhsa_system_sgpr_workgroup_id_y 0
		.amdhsa_system_sgpr_workgroup_id_z 0
		.amdhsa_system_sgpr_workgroup_info 0
		.amdhsa_system_vgpr_workitem_id 0
		.amdhsa_next_free_vgpr 113
		.amdhsa_next_free_sgpr 32
		.amdhsa_reserve_vcc 1
		.amdhsa_reserve_flat_scratch 0
		.amdhsa_float_round_mode_32 0
		.amdhsa_float_round_mode_16_64 0
		.amdhsa_float_denorm_mode_32 3
		.amdhsa_float_denorm_mode_16_64 3
		.amdhsa_dx10_clamp 1
		.amdhsa_ieee_mode 1
		.amdhsa_fp16_overflow 0
		.amdhsa_exception_fp_ieee_invalid_op 0
		.amdhsa_exception_fp_denorm_src 0
		.amdhsa_exception_fp_ieee_div_zero 0
		.amdhsa_exception_fp_ieee_overflow 0
		.amdhsa_exception_fp_ieee_underflow 0
		.amdhsa_exception_fp_ieee_inexact 0
		.amdhsa_exception_int_div_zero 0
	.end_amdhsa_kernel
	.text
.Lfunc_end0:
	.size	fft_rtc_back_len1092_factors_2_2_13_7_3_wgs_52_tpt_52_halfLds_sp_op_CI_CI_sbrr_dirReg, .Lfunc_end0-fft_rtc_back_len1092_factors_2_2_13_7_3_wgs_52_tpt_52_halfLds_sp_op_CI_CI_sbrr_dirReg
                                        ; -- End function
	.section	.AMDGPU.csdata,"",@progbits
; Kernel info:
; codeLenInByte = 16800
; NumSgprs: 36
; NumVgprs: 113
; ScratchSize: 0
; MemoryBound: 0
; FloatMode: 240
; IeeeMode: 1
; LDSByteSize: 0 bytes/workgroup (compile time only)
; SGPRBlocks: 4
; VGPRBlocks: 28
; NumSGPRsForWavesPerEU: 36
; NumVGPRsForWavesPerEU: 113
; Occupancy: 2
; WaveLimiterHint : 1
; COMPUTE_PGM_RSRC2:SCRATCH_EN: 0
; COMPUTE_PGM_RSRC2:USER_SGPR: 6
; COMPUTE_PGM_RSRC2:TRAP_HANDLER: 0
; COMPUTE_PGM_RSRC2:TGID_X_EN: 1
; COMPUTE_PGM_RSRC2:TGID_Y_EN: 0
; COMPUTE_PGM_RSRC2:TGID_Z_EN: 0
; COMPUTE_PGM_RSRC2:TIDIG_COMP_CNT: 0
	.type	__hip_cuid_869a7ab810b6a3a3,@object ; @__hip_cuid_869a7ab810b6a3a3
	.section	.bss,"aw",@nobits
	.globl	__hip_cuid_869a7ab810b6a3a3
__hip_cuid_869a7ab810b6a3a3:
	.byte	0                               ; 0x0
	.size	__hip_cuid_869a7ab810b6a3a3, 1

	.ident	"AMD clang version 19.0.0git (https://github.com/RadeonOpenCompute/llvm-project roc-6.4.0 25133 c7fe45cf4b819c5991fe208aaa96edf142730f1d)"
	.section	".note.GNU-stack","",@progbits
	.addrsig
	.addrsig_sym __hip_cuid_869a7ab810b6a3a3
	.amdgpu_metadata
---
amdhsa.kernels:
  - .args:
      - .actual_access:  read_only
        .address_space:  global
        .offset:         0
        .size:           8
        .value_kind:     global_buffer
      - .offset:         8
        .size:           8
        .value_kind:     by_value
      - .actual_access:  read_only
        .address_space:  global
        .offset:         16
        .size:           8
        .value_kind:     global_buffer
      - .actual_access:  read_only
        .address_space:  global
        .offset:         24
        .size:           8
        .value_kind:     global_buffer
      - .actual_access:  read_only
        .address_space:  global
        .offset:         32
        .size:           8
        .value_kind:     global_buffer
      - .offset:         40
        .size:           8
        .value_kind:     by_value
      - .actual_access:  read_only
        .address_space:  global
        .offset:         48
        .size:           8
        .value_kind:     global_buffer
      - .actual_access:  read_only
        .address_space:  global
        .offset:         56
        .size:           8
        .value_kind:     global_buffer
      - .offset:         64
        .size:           4
        .value_kind:     by_value
      - .actual_access:  read_only
        .address_space:  global
        .offset:         72
        .size:           8
        .value_kind:     global_buffer
      - .actual_access:  read_only
        .address_space:  global
        .offset:         80
        .size:           8
        .value_kind:     global_buffer
      - .actual_access:  read_only
        .address_space:  global
        .offset:         88
        .size:           8
        .value_kind:     global_buffer
      - .actual_access:  write_only
        .address_space:  global
        .offset:         96
        .size:           8
        .value_kind:     global_buffer
    .group_segment_fixed_size: 0
    .kernarg_segment_align: 8
    .kernarg_segment_size: 104
    .language:       OpenCL C
    .language_version:
      - 2
      - 0
    .max_flat_workgroup_size: 52
    .name:           fft_rtc_back_len1092_factors_2_2_13_7_3_wgs_52_tpt_52_halfLds_sp_op_CI_CI_sbrr_dirReg
    .private_segment_fixed_size: 0
    .sgpr_count:     36
    .sgpr_spill_count: 0
    .symbol:         fft_rtc_back_len1092_factors_2_2_13_7_3_wgs_52_tpt_52_halfLds_sp_op_CI_CI_sbrr_dirReg.kd
    .uniform_work_group_size: 1
    .uses_dynamic_stack: false
    .vgpr_count:     113
    .vgpr_spill_count: 0
    .wavefront_size: 64
amdhsa.target:   amdgcn-amd-amdhsa--gfx906
amdhsa.version:
  - 1
  - 2
...

	.end_amdgpu_metadata
